;; amdgpu-corpus repo=ROCm/rocFFT kind=compiled arch=gfx1201 opt=O3
	.text
	.amdgcn_target "amdgcn-amd-amdhsa--gfx1201"
	.amdhsa_code_object_version 6
	.protected	bluestein_single_back_len624_dim1_dp_op_CI_CI ; -- Begin function bluestein_single_back_len624_dim1_dp_op_CI_CI
	.globl	bluestein_single_back_len624_dim1_dp_op_CI_CI
	.p2align	8
	.type	bluestein_single_back_len624_dim1_dp_op_CI_CI,@function
bluestein_single_back_len624_dim1_dp_op_CI_CI: ; @bluestein_single_back_len624_dim1_dp_op_CI_CI
; %bb.0:
	s_load_b128 s[8:11], s[0:1], 0x28
	v_mul_u32_u24_e32 v1, 0x4ed, v0
	s_mov_b32 s2, exec_lo
	v_mov_b32_e32 v133, 0
	s_delay_alu instid0(VALU_DEP_2) | instskip(NEXT) | instid1(VALU_DEP_1)
	v_lshrrev_b32_e32 v1, 16, v1
	v_add_nc_u32_e32 v132, ttmp9, v1
	s_wait_kmcnt 0x0
	s_delay_alu instid0(VALU_DEP_1)
	v_cmpx_gt_u64_e64 s[8:9], v[132:133]
	s_cbranch_execz .LBB0_15
; %bb.1:
	v_mul_lo_u16 v1, v1, 52
	s_clause 0x1
	s_load_b64 s[12:13], s[0:1], 0x0
	s_load_b64 s[8:9], s[0:1], 0x38
	s_delay_alu instid0(VALU_DEP_1) | instskip(NEXT) | instid1(VALU_DEP_1)
	v_sub_nc_u16 v0, v0, v1
	v_and_b32_e32 v244, 0xffff, v0
	v_cmp_gt_u16_e32 vcc_lo, 48, v0
	s_delay_alu instid0(VALU_DEP_2)
	v_lshlrev_b32_e32 v141, 4, v244
	v_or_b32_e32 v139, 0xc0, v244
	v_or_b32_e32 v245, 0x180, v244
	;; [unrolled: 1-line block ×3, first 2 shown]
	s_and_saveexec_b32 s3, vcc_lo
	s_cbranch_execz .LBB0_3
; %bb.2:
	s_load_b64 s[4:5], s[0:1], 0x18
	s_wait_kmcnt 0x0
	s_load_b128 s[4:7], s[4:5], 0x0
	s_clause 0x3
	global_load_b128 v[0:3], v141, s[12:13]
	global_load_b128 v[4:7], v141, s[12:13] offset:768
	global_load_b128 v[8:11], v141, s[12:13] offset:1536
	;; [unrolled: 1-line block ×3, first 2 shown]
	s_wait_kmcnt 0x0
	v_mad_co_u64_u32 v[32:33], null, s6, v132, 0
	v_mad_co_u64_u32 v[34:35], null, s4, v244, 0
	;; [unrolled: 1-line block ×4, first 2 shown]
	s_delay_alu instid0(VALU_DEP_4) | instskip(SKIP_1) | instid1(VALU_DEP_4)
	v_mov_b32_e32 v16, v33
	v_mad_co_u64_u32 v[48:49], null, s4, v246, 0
	v_dual_mov_b32 v24, v35 :: v_dual_mov_b32 v37, v47
	s_delay_alu instid0(VALU_DEP_3)
	v_mad_co_u64_u32 v[25:26], null, s7, v132, v[16:17]
	s_mul_u64 s[6:7], s[4:5], 0x300
	s_clause 0x1
	global_load_b128 v[16:19], v141, s[12:13] offset:3072
	global_load_b128 v[20:23], v141, s[12:13] offset:3840
	v_mov_b32_e32 v33, v25
	v_mad_co_u64_u32 v[35:36], null, s5, v244, v[24:25]
	v_mov_b32_e32 v36, v45
	s_clause 0x1
	global_load_b128 v[24:27], v141, s[12:13] offset:4608
	global_load_b128 v[28:31], v141, s[12:13] offset:5376
	v_lshlrev_b64_e32 v[32:33], 4, v[32:33]
	v_mad_co_u64_u32 v[40:41], null, s5, v139, v[36:37]
	v_lshlrev_b64_e32 v[34:35], 4, v[34:35]
	s_delay_alu instid0(VALU_DEP_3) | instskip(NEXT) | instid1(VALU_DEP_1)
	v_add_co_u32 v56, s2, s10, v32
	v_add_co_ci_u32_e64 v57, s2, s11, v33, s2
	v_mad_co_u64_u32 v[41:42], null, s5, v245, v[37:38]
	v_mov_b32_e32 v45, v40
	s_delay_alu instid0(VALU_DEP_4) | instskip(SKIP_2) | instid1(VALU_DEP_4)
	v_add_co_u32 v50, s2, v56, v34
	s_wait_alu 0xf1ff
	v_add_co_ci_u32_e64 v51, s2, v57, v35, s2
	v_dual_mov_b32 v32, v49 :: v_dual_mov_b32 v47, v41
	s_wait_alu 0xfffe
	v_add_co_u32 v60, s2, v50, s6
	s_wait_alu 0xf1ff
	v_add_co_ci_u32_e64 v61, s2, s7, v51, s2
	v_lshlrev_b64_e32 v[44:45], 4, v[44:45]
	s_delay_alu instid0(VALU_DEP_3) | instskip(SKIP_1) | instid1(VALU_DEP_3)
	v_add_co_u32 v64, s2, v60, s6
	s_wait_alu 0xf1ff
	v_add_co_ci_u32_e64 v65, s2, s7, v61, s2
	v_mad_co_u64_u32 v[42:43], null, s5, v246, v[32:33]
	s_delay_alu instid0(VALU_DEP_3) | instskip(SKIP_1) | instid1(VALU_DEP_3)
	v_add_co_u32 v68, s2, v64, s6
	s_wait_alu 0xf1ff
	v_add_co_ci_u32_e64 v69, s2, s7, v65, s2
	s_mulk_i32 s5, 0x600
	v_lshlrev_b64_e32 v[46:47], 4, v[46:47]
	v_add_co_u32 v52, s2, v56, v44
	s_delay_alu instid0(VALU_DEP_3)
	v_mad_co_u64_u32 v[72:73], null, 0x600, s4, v[68:69]
	s_wait_alu 0xf1ff
	v_add_co_ci_u32_e64 v53, s2, v57, v45, s2
	v_mov_b32_e32 v49, v42
	s_clause 0x2
	global_load_b128 v[32:35], v141, s[12:13] offset:6144
	global_load_b128 v[36:39], v141, s[12:13] offset:6912
	;; [unrolled: 1-line block ×3, first 2 shown]
	s_wait_alu 0xfffe
	v_add_nc_u32_e32 v73, s5, v73
	v_add_co_u32 v76, s2, v72, s6
	v_lshlrev_b64_e32 v[48:49], 4, v[48:49]
	s_wait_alu 0xf1ff
	s_delay_alu instid0(VALU_DEP_3)
	v_add_co_ci_u32_e64 v77, s2, s7, v73, s2
	v_add_co_u32 v54, s2, v56, v46
	s_wait_alu 0xf1ff
	v_add_co_ci_u32_e64 v55, s2, v57, v47, s2
	v_add_co_u32 v80, s2, v76, s6
	s_wait_alu 0xf1ff
	;; [unrolled: 3-line block ×3, first 2 shown]
	v_add_co_ci_u32_e64 v57, s2, v57, v49, s2
	s_delay_alu instid0(VALU_DEP_3)
	v_mad_co_u64_u32 v[84:85], null, 0x600, s4, v[80:81]
	s_clause 0x7
	global_load_b128 v[44:47], v[50:51], off
	global_load_b128 v[48:51], v[52:53], off
	;; [unrolled: 1-line block ×10, first 2 shown]
	v_add_nc_u32_e32 v85, s5, v85
	v_add_co_u32 v88, s2, v84, s6
	s_wait_alu 0xf1ff
	s_delay_alu instid0(VALU_DEP_2) | instskip(NEXT) | instid1(VALU_DEP_2)
	v_add_co_ci_u32_e64 v89, s2, s7, v85, s2
	v_add_co_u32 v100, s2, v88, s6
	s_wait_alu 0xf1ff
	s_delay_alu instid0(VALU_DEP_2)
	v_add_co_ci_u32_e64 v101, s2, s7, v89, s2
	global_load_b128 v[84:87], v[84:85], off
	global_load_b128 v[88:91], v[88:89], off
	s_clause 0x1
	global_load_b128 v[92:95], v141, s[12:13] offset:7680
	global_load_b128 v[96:99], v141, s[12:13] offset:8448
	global_load_b128 v[100:103], v[100:101], off
	s_wait_loadcnt 0xe
	v_mul_f64_e32 v[104:105], v[46:47], v[2:3]
	v_mul_f64_e32 v[2:3], v[44:45], v[2:3]
	s_wait_loadcnt 0xd
	v_mul_f64_e32 v[106:107], v[50:51], v[18:19]
	v_mul_f64_e32 v[18:19], v[48:49], v[18:19]
	;; [unrolled: 3-line block ×9, first 2 shown]
	v_mul_f64_e32 v[110:111], v[58:59], v[42:43]
	v_mul_f64_e32 v[142:143], v[56:57], v[42:43]
	s_wait_loadcnt 0x4
	v_mul_f64_e32 v[130:131], v[86:87], v[38:39]
	v_mul_f64_e32 v[38:39], v[84:85], v[38:39]
	s_wait_loadcnt 0x2
	;; [unrolled: 3-line block ×3, first 2 shown]
	v_mul_f64_e32 v[135:136], v[102:103], v[98:99]
	v_mul_f64_e32 v[98:99], v[100:101], v[98:99]
	v_fma_f64 v[42:43], v[44:45], v[0:1], v[104:105]
	v_fma_f64 v[44:45], v[46:47], v[0:1], -v[2:3]
	v_fma_f64 v[0:1], v[48:49], v[16:17], v[106:107]
	v_fma_f64 v[2:3], v[50:51], v[16:17], -v[18:19]
	;; [unrolled: 2-line block ×13, first 2 shown]
	ds_store_b128 v141, v[42:45]
	ds_store_b128 v141, v[30:33] offset:768
	ds_store_b128 v141, v[46:49] offset:1536
	;; [unrolled: 1-line block ×12, first 2 shown]
.LBB0_3:
	s_or_b32 exec_lo, exec_lo, s3
	s_load_b64 s[2:3], s[0:1], 0x20
	global_wb scope:SCOPE_SE
	s_wait_dscnt 0x0
	s_wait_kmcnt 0x0
	s_barrier_signal -1
	s_barrier_wait -1
	global_inv scope:SCOPE_SE
                                        ; implicit-def: $vgpr20_vgpr21
                                        ; implicit-def: $vgpr44_vgpr45
                                        ; implicit-def: $vgpr40_vgpr41
                                        ; implicit-def: $vgpr28_vgpr29
                                        ; implicit-def: $vgpr24_vgpr25
                                        ; implicit-def: $vgpr8_vgpr9
                                        ; implicit-def: $vgpr4_vgpr5
                                        ; implicit-def: $vgpr12_vgpr13
                                        ; implicit-def: $vgpr16_vgpr17
                                        ; implicit-def: $vgpr32_vgpr33
                                        ; implicit-def: $vgpr36_vgpr37
                                        ; implicit-def: $vgpr52_vgpr53
                                        ; implicit-def: $vgpr48_vgpr49
	s_and_saveexec_b32 s4, vcc_lo
	s_cbranch_execz .LBB0_5
; %bb.4:
	ds_load_b128 v[20:23], v141
	ds_load_b128 v[48:51], v141 offset:768
	ds_load_b128 v[52:55], v141 offset:1536
	;; [unrolled: 1-line block ×12, first 2 shown]
.LBB0_5:
	s_wait_alu 0xfffe
	s_or_b32 exec_lo, exec_lo, s4
	s_wait_dscnt 0x0
	v_add_f64_e64 v[118:119], v[50:51], -v[6:7]
	v_add_f64_e64 v[82:83], v[48:49], -v[4:5]
	s_mov_b32 s4, 0x4267c47c
	s_mov_b32 s5, 0xbfddbe06
	v_add_f64_e32 v[80:81], v[4:5], v[48:49]
	v_add_f64_e32 v[120:121], v[6:7], v[50:51]
	v_add_f64_e64 v[88:89], v[54:55], -v[10:11]
	v_add_f64_e64 v[90:91], v[52:53], -v[8:9]
	s_mov_b32 s6, 0xe00740e9
	s_mov_b32 s14, 0x42a4c3d2
	s_mov_b32 s7, 0x3fec55a7
	s_mov_b32 s15, 0xbfea55e2
	v_add_f64_e32 v[70:71], v[8:9], v[52:53]
	v_add_f64_e32 v[122:123], v[10:11], v[54:55]
	v_add_f64_e64 v[100:101], v[46:47], -v[14:15]
	v_add_f64_e64 v[102:103], v[44:45], -v[12:13]
	s_mov_b32 s10, 0x1ea71119
	s_mov_b32 s18, 0x66966769
	;; [unrolled: 8-line block ×4, first 2 shown]
	s_mov_b32 s29, 0xbfd6b1d8
	s_mov_b32 s21, 0xbfe5384d
	v_add_f64_e32 v[62:63], v[24:25], v[36:37]
	v_add_f64_e32 v[114:115], v[26:27], v[38:39]
	s_wait_alu 0xfffe
	v_mul_f64_e32 v[92:93], s[4:5], v[118:119]
	v_mul_f64_e32 v[96:97], s[4:5], v[82:83]
	v_add_f64_e64 v[104:105], v[34:35], -v[30:31]
	s_mov_b32 s22, 0xd0032e0c
	s_mov_b32 s30, 0x4bc48dbf
	;; [unrolled: 1-line block ×3, first 2 shown]
	v_mul_f64_e32 v[78:79], s[14:15], v[88:89]
	v_mul_f64_e32 v[84:85], s[14:15], v[90:91]
	s_mov_b32 s31, 0xbfcea1e5
	v_add_f64_e32 v[116:117], v[30:31], v[34:35]
	s_mov_b32 s26, 0x93053d00
	s_mov_b32 s27, 0xbfef11f4
	s_load_b64 s[0:1], s[0:1], 0x8
	v_mul_lo_u16 v143, v244, 13
	v_mul_f64_e32 v[98:99], s[18:19], v[100:101]
	v_mul_f64_e32 v[108:109], s[18:19], v[102:103]
	global_wb scope:SCOPE_SE
	s_wait_kmcnt 0x0
	s_barrier_signal -1
	s_barrier_wait -1
	global_inv scope:SCOPE_SE
	v_mul_f64_e32 v[112:113], s[24:25], v[110:111]
	v_mul_f64_e32 v[106:107], s[24:25], v[86:87]
	;; [unrolled: 1-line block ×4, first 2 shown]
	v_fma_f64 v[0:1], v[80:81], s[6:7], v[92:93]
	v_fma_f64 v[2:3], v[120:121], s[6:7], -v[96:97]
	v_fma_f64 v[56:57], v[70:71], s[10:11], v[78:79]
	v_fma_f64 v[58:59], v[122:123], s[10:11], -v[84:85]
	;; [unrolled: 2-line block ×3, first 2 shown]
	v_fma_f64 v[130:131], v[126:127], s[28:29], -v[112:113]
	v_fma_f64 v[128:129], v[64:65], s[28:29], v[106:107]
	v_fma_f64 v[135:136], v[114:115], s[22:23], -v[74:75]
	v_fma_f64 v[133:134], v[62:63], s[22:23], v[72:73]
	v_add_f64_e32 v[0:1], v[20:21], v[0:1]
	v_add_f64_e32 v[2:3], v[22:23], v[2:3]
	s_delay_alu instid0(VALU_DEP_2) | instskip(NEXT) | instid1(VALU_DEP_2)
	v_add_f64_e32 v[0:1], v[56:57], v[0:1]
	v_add_f64_e32 v[2:3], v[58:59], v[2:3]
	v_add_f64_e64 v[56:57], v[32:33], -v[28:29]
	v_add_f64_e32 v[58:59], v[28:29], v[32:33]
	s_delay_alu instid0(VALU_DEP_4) | instskip(NEXT) | instid1(VALU_DEP_4)
	v_add_f64_e32 v[0:1], v[66:67], v[0:1]
	v_add_f64_e32 v[2:3], v[68:69], v[2:3]
	v_mul_f64_e32 v[66:67], s[30:31], v[104:105]
	v_mul_f64_e32 v[68:69], s[30:31], v[56:57]
	s_delay_alu instid0(VALU_DEP_4) | instskip(NEXT) | instid1(VALU_DEP_4)
	v_add_f64_e32 v[0:1], v[128:129], v[0:1]
	v_add_f64_e32 v[2:3], v[130:131], v[2:3]
	s_delay_alu instid0(VALU_DEP_4) | instskip(NEXT) | instid1(VALU_DEP_4)
	v_fma_f64 v[128:129], v[58:59], s[26:27], v[66:67]
	v_fma_f64 v[130:131], v[116:117], s[26:27], -v[68:69]
	s_delay_alu instid0(VALU_DEP_4) | instskip(NEXT) | instid1(VALU_DEP_4)
	v_add_f64_e32 v[0:1], v[133:134], v[0:1]
	v_add_f64_e32 v[2:3], v[135:136], v[2:3]
	s_delay_alu instid0(VALU_DEP_2) | instskip(NEXT) | instid1(VALU_DEP_2)
	v_add_f64_e32 v[0:1], v[128:129], v[0:1]
	v_add_f64_e32 v[2:3], v[130:131], v[2:3]
	s_and_saveexec_b32 s33, vcc_lo
	s_cbranch_execz .LBB0_7
; %bb.6:
	v_add_f64_e32 v[50:51], v[22:23], v[50:51]
	v_add_f64_e32 v[48:49], v[20:21], v[48:49]
	v_mul_f64_e32 v[150:151], s[26:27], v[120:121]
	v_mul_f64_e32 v[152:153], s[30:31], v[118:119]
	;; [unrolled: 1-line block ×9, first 2 shown]
	s_mov_b32 s45, 0x3fedeba7
	s_mov_b32 s44, s24
	;; [unrolled: 1-line block ×10, first 2 shown]
	v_mul_f64_e32 v[130:131], s[16:17], v[124:125]
	v_mul_f64_e32 v[135:136], s[28:29], v[126:127]
	;; [unrolled: 1-line block ×17, first 2 shown]
	v_add_f64_e32 v[50:51], v[54:55], v[50:51]
	v_add_f64_e32 v[48:49], v[52:53], v[48:49]
	v_mul_f64_e32 v[54:55], s[10:11], v[122:123]
	v_mul_f64_e32 v[122:123], s[28:29], v[122:123]
	;; [unrolled: 1-line block ×4, first 2 shown]
	v_fma_f64 v[230:231], v[82:83], s[42:43], v[150:151]
	v_fma_f64 v[232:233], v[80:81], s[26:27], v[152:153]
	v_fma_f64 v[150:151], v[82:83], s[30:31], v[150:151]
	v_fma_f64 v[152:153], v[80:81], s[26:27], -v[152:153]
	v_fma_f64 v[240:241], v[82:83], s[34:35], v[160:161]
	v_fma_f64 v[242:243], v[80:81], s[22:23], v[162:163]
	v_fma_f64 v[160:161], v[82:83], s[20:21], v[160:161]
	v_fma_f64 v[162:163], v[80:81], s[22:23], -v[162:163]
	;; [unrolled: 4-line block ×3, first 2 shown]
	v_fma_f64 v[137:138], v[82:83], s[38:39], v[180:181]
	s_mov_b32 s37, 0x3fddbe06
	s_mov_b32 s36, s4
	scratch_store_b128 off, v[0:3], off     ; 16-byte Folded Spill
	v_mov_b32_e32 v0, v66
	v_mul_f64_e32 v[52:53], s[10:11], v[70:71]
	v_mul_f64_e32 v[128:129], s[16:17], v[76:77]
	;; [unrolled: 1-line block ×12, first 2 shown]
	v_fma_f64 v[224:225], v[110:111], s[14:15], v[144:145]
	v_fma_f64 v[226:227], v[102:103], s[34:35], v[146:147]
	;; [unrolled: 1-line block ×3, first 2 shown]
	v_add_f64_e32 v[46:47], v[46:47], v[50:51]
	v_add_f64_e32 v[44:45], v[44:45], v[48:49]
	v_mul_f64_e32 v[48:49], s[6:7], v[80:81]
	v_mul_f64_e32 v[50:51], s[6:7], v[120:121]
	;; [unrolled: 1-line block ×3, first 2 shown]
	v_fma_f64 v[144:145], v[110:111], s[40:41], v[144:145]
	v_fma_f64 v[146:147], v[102:103], s[20:21], v[146:147]
	;; [unrolled: 1-line block ×9, first 2 shown]
	v_dual_mov_b32 v142, v246 :: v_dual_mov_b32 v1, v67
	v_fma_f64 v[246:247], v[102:103], s[4:5], v[166:167]
	v_fma_f64 v[248:249], v[90:91], s[20:21], v[168:169]
	;; [unrolled: 1-line block ×6, first 2 shown]
	v_add_f64_e32 v[232:233], v[20:21], v[232:233]
	v_add_f64_e32 v[152:153], v[20:21], v[152:153]
	;; [unrolled: 1-line block ×15, first 2 shown]
	v_add_f64_e64 v[106:107], v[133:134], -v[106:107]
	v_add_f64_e32 v[42:43], v[42:43], v[46:47]
	v_add_f64_e32 v[40:41], v[40:41], v[44:45]
	v_mul_f64_e32 v[46:47], s[16:17], v[126:127]
	v_mul_f64_e32 v[126:127], s[22:23], v[126:127]
	v_add_f64_e64 v[48:49], v[48:49], -v[92:93]
	v_mul_f64_e32 v[44:45], s[14:15], v[100:101]
	v_add_f64_e32 v[50:51], v[96:97], v[50:51]
	v_fma_f64 v[96:97], v[90:91], s[42:43], v[178:179]
	v_fma_f64 v[92:93], v[102:103], s[44:45], v[176:177]
	;; [unrolled: 1-line block ×3, first 2 shown]
	v_fma_f64 v[182:183], v[70:71], s[26:27], -v[182:183]
	v_add_f64_e64 v[98:99], v[128:129], -v[98:99]
	v_fma_f64 v[128:129], v[76:77], s[26:27], v[186:187]
	v_add_f64_e64 v[52:53], v[52:53], -v[78:79]
	v_fma_f64 v[78:79], v[70:71], s[28:29], v[188:189]
	v_fma_f64 v[186:187], v[76:77], s[26:27], -v[186:187]
	v_fma_f64 v[188:189], v[70:71], s[28:29], -v[188:189]
	v_mul_f64_e32 v[196:197], s[26:27], v[58:59]
	v_mul_f64_e32 v[190:191], s[18:19], v[86:87]
	v_add_f64_e32 v[112:113], v[112:113], v[135:136]
	v_mul_f64_e32 v[135:136], s[40:41], v[86:87]
	v_mul_f64_e32 v[202:203], s[24:25], v[94:95]
	;; [unrolled: 1-line block ×6, first 2 shown]
	v_add_f64_e32 v[248:249], v[248:249], v[250:251]
	v_add_f64_e32 v[228:229], v[228:229], v[230:231]
	v_mul_f64_e32 v[230:231], s[36:37], v[86:87]
	v_add_f64_e32 v[148:149], v[148:149], v[150:151]
	v_add_f64_e32 v[158:159], v[158:159], v[160:161]
	;; [unrolled: 1-line block ×4, first 2 shown]
	v_mul_f64_e32 v[150:151], s[36:37], v[94:95]
	v_mul_f64_e32 v[240:241], s[42:43], v[94:95]
	v_add_f64_e32 v[38:39], v[38:39], v[42:43]
	v_add_f64_e32 v[36:37], v[36:37], v[40:41]
	v_mul_f64_e32 v[40:41], s[6:7], v[116:117]
	v_mul_f64_e32 v[116:117], s[38:39], v[88:89]
	;; [unrolled: 1-line block ×4, first 2 shown]
	v_fma_f64 v[66:67], v[110:111], s[38:39], v[46:47]
	v_fma_f64 v[46:47], v[110:111], s[18:19], v[46:47]
	v_mul_f64_e32 v[88:89], s[34:35], v[88:89]
	v_fma_f64 v[84:85], v[76:77], s[10:11], v[44:45]
	v_fma_f64 v[44:45], v[76:77], s[10:11], -v[44:45]
	v_add_f64_e32 v[96:97], v[96:97], v[137:138]
	v_mul_f64_e32 v[94:95], s[38:39], v[94:95]
	v_fma_f64 v[160:161], v[56:57], s[18:19], v[198:199]
	v_fma_f64 v[198:199], v[56:57], s[38:39], v[198:199]
	;; [unrolled: 1-line block ×5, first 2 shown]
	v_fma_f64 v[135:136], v[64:65], s[10:11], -v[135:136]
	v_fma_f64 v[250:251], v[62:63], s[28:29], v[202:203]
	v_fma_f64 v[202:203], v[62:63], s[28:29], -v[202:203]
	v_add_f64_e64 v[72:73], v[192:193], -v[72:73]
	v_add_f64_e32 v[34:35], v[34:35], v[38:39]
	v_add_f64_e32 v[32:33], v[32:33], v[36:37]
	v_fma_f64 v[36:37], v[80:81], s[16:17], v[184:185]
	v_fma_f64 v[38:39], v[82:83], s[18:19], v[180:181]
	v_fma_f64 v[180:181], v[80:81], s[16:17], -v[184:185]
	v_fma_f64 v[184:185], v[82:83], s[40:41], v[120:121]
	v_fma_f64 v[82:83], v[82:83], s[14:15], v[120:121]
	;; [unrolled: 1-line block ×3, first 2 shown]
	v_fma_f64 v[80:81], v[80:81], s[10:11], -v[118:119]
	v_fma_f64 v[118:119], v[102:103], s[24:25], v[176:177]
	v_fma_f64 v[176:177], v[90:91], s[30:31], v[178:179]
	;; [unrolled: 1-line block ×8, first 2 shown]
	v_mul_f64_e32 v[122:123], s[36:37], v[100:101]
	v_mul_f64_e32 v[100:101], s[44:45], v[100:101]
	v_fma_f64 v[130:131], v[70:71], s[6:7], v[114:115]
	v_fma_f64 v[114:115], v[70:71], s[6:7], -v[114:115]
	v_add_f64_e32 v[30:31], v[30:31], v[34:35]
	v_add_f64_e32 v[28:29], v[28:29], v[32:33]
	;; [unrolled: 1-line block ×10, first 2 shown]
	v_fma_f64 v[48:49], v[70:71], s[16:17], v[116:117]
	v_fma_f64 v[116:117], v[70:71], s[16:17], -v[116:117]
	v_add_f64_e32 v[22:23], v[22:23], v[50:51]
	v_fma_f64 v[50:51], v[76:77], s[22:23], v[164:165]
	v_fma_f64 v[164:165], v[76:77], s[22:23], -v[164:165]
	v_fma_f64 v[34:35], v[70:71], s[22:23], v[88:89]
	v_fma_f64 v[70:71], v[70:71], s[22:23], -v[88:89]
	;; [unrolled: 2-line block ×4, first 2 shown]
	v_mul_f64_e32 v[100:101], s[42:43], v[86:87]
	v_mul_f64_e32 v[86:87], s[34:35], v[86:87]
	v_add_f64_e32 v[130:131], v[130:131], v[232:233]
	v_add_f64_e32 v[114:115], v[114:115], v[152:153]
	v_mul_f64_e32 v[232:233], s[38:39], v[104:105]
	v_mul_f64_e32 v[152:153], s[40:41], v[104:105]
	;; [unrolled: 1-line block ×3, first 2 shown]
	v_add_f64_e32 v[26:27], v[26:27], v[30:31]
	v_add_f64_e32 v[24:25], v[24:25], v[28:29]
	;; [unrolled: 1-line block ×13, first 2 shown]
	v_fma_f64 v[242:243], v[64:65], s[16:17], v[190:191]
	v_fma_f64 v[190:191], v[64:65], s[16:17], -v[190:191]
	v_add_f64_e32 v[34:35], v[34:35], v[252:253]
	v_add_f64_e32 v[70:71], v[70:71], v[172:173]
	v_fma_f64 v[182:183], v[64:65], s[6:7], v[230:231]
	v_fma_f64 v[184:185], v[64:65], s[6:7], -v[230:231]
	v_fma_f64 v[162:163], v[60:61], s[44:45], v[200:201]
	v_fma_f64 v[200:201], v[60:61], s[24:25], v[200:201]
	;; [unrolled: 1-line block ×3, first 2 shown]
	v_fma_f64 v[100:101], v[64:65], s[26:27], -v[100:101]
	v_fma_f64 v[188:189], v[64:65], s[22:23], v[86:87]
	v_fma_f64 v[64:65], v[64:65], s[22:23], -v[86:87]
	v_add_f64_e32 v[50:51], v[50:51], v[130:131]
	v_add_f64_e32 v[130:131], v[146:147], v[148:149]
	;; [unrolled: 1-line block ×6, first 2 shown]
	v_fma_f64 v[176:177], v[60:61], s[4:5], v[208:209]
	v_fma_f64 v[28:29], v[60:61], s[36:37], v[208:209]
	;; [unrolled: 1-line block ×5, first 2 shown]
	v_fma_f64 v[30:31], v[58:59], s[28:29], -v[210:211]
	v_fma_f64 v[52:53], v[56:57], s[14:15], v[212:213]
	v_add_f64_e32 v[18:19], v[18:19], v[26:27]
	v_add_f64_e32 v[16:17], v[16:17], v[24:25]
	;; [unrolled: 1-line block ×18, first 2 shown]
	v_fma_f64 v[24:25], v[60:61], s[40:41], v[218:219]
	v_fma_f64 v[26:27], v[62:63], s[10:11], v[222:223]
	;; [unrolled: 1-line block ×3, first 2 shown]
	v_fma_f64 v[96:97], v[62:63], s[10:11], -v[222:223]
	v_fma_f64 v[98:99], v[60:61], s[18:19], v[42:43]
	v_fma_f64 v[42:43], v[60:61], s[38:39], v[42:43]
	v_add_f64_e32 v[60:61], v[74:75], v[194:195]
	v_fma_f64 v[74:75], v[62:63], s[6:7], v[150:151]
	v_fma_f64 v[102:103], v[62:63], s[6:7], -v[150:151]
	v_fma_f64 v[108:109], v[62:63], s[26:27], v[240:241]
	v_fma_f64 v[118:119], v[62:63], s[26:27], -v[240:241]
	;; [unrolled: 2-line block ×3, first 2 shown]
	v_add_f64_e32 v[114:115], v[135:136], v[114:115]
	v_add_f64_e32 v[46:47], v[46:47], v[148:149]
	;; [unrolled: 1-line block ×6, first 2 shown]
	v_fma_f64 v[120:121], v[56:57], s[40:41], v[212:213]
	v_add_f64_e32 v[14:15], v[14:15], v[18:19]
	v_add_f64_e32 v[12:13], v[12:13], v[16:17]
	;; [unrolled: 1-line block ×5, first 2 shown]
	v_fma_f64 v[18:19], v[58:59], s[16:17], v[232:233]
	v_add_f64_e32 v[82:83], v[110:111], v[82:83]
	v_add_f64_e32 v[78:79], v[188:189], v[78:79]
	;; [unrolled: 1-line block ×7, first 2 shown]
	v_add_f64_e64 v[66:67], v[196:197], -v[0:1]
	scratch_load_b128 v[0:3], off, off      ; 16-byte Folded Reload
	v_add_f64_e32 v[84:85], v[154:155], v[84:85]
	v_add_f64_e32 v[70:71], v[190:191], v[70:71]
	;; [unrolled: 1-line block ×6, first 2 shown]
	v_fma_f64 v[88:89], v[56:57], s[34:35], v[216:217]
	v_fma_f64 v[106:107], v[58:59], s[22:23], v[220:221]
	v_fma_f64 v[110:111], v[56:57], s[20:21], v[216:217]
	v_fma_f64 v[112:113], v[58:59], s[22:23], -v[220:221]
	v_fma_f64 v[116:117], v[56:57], s[4:5], v[40:41]
	v_fma_f64 v[40:41], v[56:57], s[36:37], v[40:41]
	v_add_f64_e32 v[56:57], v[68:69], v[204:205]
	v_fma_f64 v[20:21], v[58:59], s[16:17], -v[232:233]
	v_fma_f64 v[68:69], v[58:59], s[10:11], v[152:153]
	v_fma_f64 v[126:127], v[58:59], s[10:11], -v[152:153]
	v_fma_f64 v[128:129], v[58:59], s[6:7], v[104:105]
	v_fma_f64 v[58:59], v[58:59], s[6:7], -v[104:105]
	v_add_f64_e32 v[104:105], v[202:203], v[114:115]
	v_add_f64_e32 v[46:47], v[133:134], v[46:47]
	;; [unrolled: 1-line block ×6, first 2 shown]
	v_mov_b32_e32 v246, v142
	v_add_f64_e32 v[38:39], v[92:93], v[38:39]
	v_add_f64_e32 v[92:93], v[8:9], v[12:13]
	;; [unrolled: 1-line block ×42, first 2 shown]
	v_and_b32_e32 v52, 0xffff, v143
	s_delay_alu instid0(VALU_DEP_1)
	v_lshlrev_b32_e32 v52, 4, v52
	ds_store_b128 v52, v[36:39] offset:32
	ds_store_b128 v52, v[32:35] offset:48
	;; [unrolled: 1-line block ×10, first 2 shown]
	ds_store_b128 v52, v[4:7]
	ds_store_b128 v52, v[48:51] offset:16
	s_wait_loadcnt 0x0
	ds_store_b128 v52, v[0:3] offset:192
.LBB0_7:
	s_or_b32 exec_lo, exec_lo, s33
	v_and_b32_e32 v4, 0xff, v244
	v_add_nc_u16 v5, v244, 52
	v_add_nc_u16 v6, v244, 0x68
	s_load_b128 s[4:7], s[2:3], 0x0
	global_wb scope:SCOPE_SE
	s_wait_storecnt_dscnt 0x0
	v_mul_lo_u16 v4, 0x4f, v4
	v_and_b32_e32 v7, 0xff, v5
	v_and_b32_e32 v8, 0xff, v6
	s_wait_kmcnt 0x0
	s_barrier_signal -1
	s_barrier_wait -1
	v_lshrrev_b16 v116, 10, v4
	v_mul_lo_u16 v4, 0x4f, v7
	v_mul_lo_u16 v7, 0x4f, v8
	global_inv scope:SCOPE_SE
	s_mov_b32 s3, 0xbfebb67a
	v_mul_lo_u16 v8, v116, 13
	v_lshrrev_b16 v117, 10, v4
	v_lshrrev_b16 v118, 10, v7
	v_lshlrev_b32_e32 v144, 4, v244
	s_delay_alu instid0(VALU_DEP_4) | instskip(NEXT) | instid1(VALU_DEP_4)
	v_sub_nc_u16 v4, v244, v8
	v_mul_lo_u16 v7, v117, 13
	s_delay_alu instid0(VALU_DEP_4) | instskip(NEXT) | instid1(VALU_DEP_3)
	v_mul_lo_u16 v8, v118, 13
	v_and_b32_e32 v119, 0xff, v4
	s_delay_alu instid0(VALU_DEP_3) | instskip(NEXT) | instid1(VALU_DEP_3)
	v_sub_nc_u16 v7, v5, v7
	v_sub_nc_u16 v6, v6, v8
	s_delay_alu instid0(VALU_DEP_3) | instskip(NEXT) | instid1(VALU_DEP_3)
	v_mad_co_u64_u32 v[4:5], null, v119, 48, s[0:1]
	v_and_b32_e32 v120, 0xff, v7
	s_delay_alu instid0(VALU_DEP_3)
	v_and_b32_e32 v121, 0xff, v6
	s_clause 0x1
	global_load_b128 v[36:39], v[4:5], off
	global_load_b128 v[32:35], v[4:5], off offset:16
	v_mad_co_u64_u32 v[6:7], null, v120, 48, s[0:1]
	v_mad_co_u64_u32 v[8:9], null, v121, 48, s[0:1]
	s_clause 0x6
	global_load_b128 v[28:31], v[4:5], off offset:32
	global_load_b128 v[24:27], v[6:7], off
	global_load_b128 v[20:23], v[6:7], off offset:16
	global_load_b128 v[16:19], v[6:7], off offset:32
	global_load_b128 v[48:51], v[8:9], off
	global_load_b128 v[44:47], v[8:9], off offset:16
	global_load_b128 v[40:43], v[8:9], off offset:32
	v_and_b32_e32 v4, 0xffff, v244
	s_delay_alu instid0(VALU_DEP_1)
	v_lshlrev_b32_e32 v142, 4, v4
	ds_load_b128 v[4:7], v142 offset:2496
	ds_load_b128 v[8:11], v142 offset:4992
	;; [unrolled: 1-line block ×10, first 2 shown]
	s_wait_loadcnt_dscnt 0x809
	v_mul_f64_e32 v[80:81], v[6:7], v[38:39]
	v_mul_f64_e32 v[82:83], v[4:5], v[38:39]
	s_wait_loadcnt_dscnt 0x708
	v_mul_f64_e32 v[84:85], v[10:11], v[34:35]
	v_mul_f64_e32 v[86:87], v[8:9], v[34:35]
	;; [unrolled: 3-line block ×9, first 2 shown]
	v_fma_f64 v[80:81], v[4:5], v[36:37], -v[80:81]
	v_fma_f64 v[82:83], v[6:7], v[36:37], v[82:83]
	v_fma_f64 v[84:85], v[8:9], v[32:33], -v[84:85]
	v_fma_f64 v[86:87], v[10:11], v[32:33], v[86:87]
	;; [unrolled: 2-line block ×9, first 2 shown]
	ds_load_b128 v[4:7], v142
	ds_load_b128 v[8:11], v142 offset:832
	global_wb scope:SCOPE_SE
	s_wait_dscnt 0x0
	s_barrier_signal -1
	s_barrier_wait -1
	global_inv scope:SCOPE_SE
	v_add_f64_e64 v[84:85], v[4:5], -v[84:85]
	v_add_f64_e64 v[86:87], v[6:7], -v[86:87]
	;; [unrolled: 1-line block ×12, first 2 shown]
	v_fma_f64 v[72:73], v[4:5], 2.0, -v[84:85]
	v_fma_f64 v[94:95], v[6:7], 2.0, -v[86:87]
	;; [unrolled: 1-line block ×4, first 2 shown]
	v_add_f64_e64 v[4:5], v[84:85], -v[14:15]
	v_add_f64_e32 v[6:7], v[86:87], v[12:13]
	v_fma_f64 v[80:81], v[8:9], 2.0, -v[88:89]
	v_fma_f64 v[96:97], v[10:11], 2.0, -v[90:91]
	;; [unrolled: 1-line block ×4, first 2 shown]
	v_add_f64_e64 v[8:9], v[88:89], -v[58:59]
	v_add_f64_e32 v[10:11], v[90:91], v[56:57]
	v_fma_f64 v[98:99], v[76:77], 2.0, -v[60:61]
	v_fma_f64 v[100:101], v[78:79], 2.0, -v[92:93]
	;; [unrolled: 1-line block ×4, first 2 shown]
	v_add_f64_e64 v[52:53], v[60:61], -v[62:63]
	v_add_f64_e64 v[12:13], v[72:73], -v[70:71]
	;; [unrolled: 1-line block ×5, first 2 shown]
	v_add_f64_e32 v[54:55], v[92:93], v[68:69]
	v_fma_f64 v[68:69], v[86:87], 2.0, -v[6:7]
	v_fma_f64 v[70:71], v[88:89], 2.0, -v[8:9]
	v_add_f64_e64 v[62:63], v[98:99], -v[64:65]
	v_add_f64_e64 v[64:65], v[100:101], -v[66:67]
	v_fma_f64 v[66:67], v[84:85], 2.0, -v[4:5]
	v_fma_f64 v[78:79], v[60:61], 2.0, -v[52:53]
	v_and_b32_e32 v60, 0xffff, v116
	v_and_b32_e32 v61, 0xffff, v117
	v_fma_f64 v[74:75], v[72:73], 2.0, -v[12:13]
	v_fma_f64 v[76:77], v[94:95], 2.0, -v[14:15]
	;; [unrolled: 1-line block ×3, first 2 shown]
	v_and_b32_e32 v90, 0xffff, v118
	v_mul_u32_u24_e32 v91, 52, v60
	v_fma_f64 v[82:83], v[80:81], 2.0, -v[56:57]
	v_fma_f64 v[84:85], v[96:97], 2.0, -v[58:59]
	;; [unrolled: 1-line block ×3, first 2 shown]
	v_mul_u32_u24_e32 v92, 52, v61
	v_mad_co_u64_u32 v[60:61], null, 0x50, v244, s[0:1]
	v_fma_f64 v[86:87], v[98:99], 2.0, -v[62:63]
	v_fma_f64 v[88:89], v[100:101], 2.0, -v[64:65]
	v_mul_u32_u24_e32 v90, 52, v90
	v_add_lshl_u32 v147, v91, v119, 4
	v_add_lshl_u32 v146, v92, v120, 4
	s_mov_b32 s0, 0xe8584caa
	s_mov_b32 s1, 0x3febb67a
	v_add_lshl_u32 v145, v90, v121, 4
	s_wait_alu 0xfffe
	s_mov_b32 s2, s0
	ds_store_b128 v147, v[12:15] offset:416
	ds_store_b128 v147, v[4:7] offset:624
	ds_store_b128 v147, v[74:77]
	ds_store_b128 v147, v[66:69] offset:208
	ds_store_b128 v146, v[56:59] offset:416
	;; [unrolled: 1-line block ×3, first 2 shown]
	ds_store_b128 v146, v[82:85]
	ds_store_b128 v146, v[70:73] offset:208
	ds_store_b128 v145, v[86:89]
	ds_store_b128 v145, v[78:81] offset:208
	ds_store_b128 v145, v[62:65] offset:416
	;; [unrolled: 1-line block ×3, first 2 shown]
	global_wb scope:SCOPE_SE
	s_wait_dscnt 0x0
	s_barrier_signal -1
	s_barrier_wait -1
	global_inv scope:SCOPE_SE
	s_clause 0x4
	global_load_b128 v[52:55], v[60:61], off offset:656
	global_load_b128 v[56:59], v[60:61], off offset:688
	;; [unrolled: 1-line block ×5, first 2 shown]
	ds_load_b128 v[62:65], v142 offset:4992
	ds_load_b128 v[66:69], v142 offset:8320
	ds_load_b128 v[70:73], v142 offset:5824
	ds_load_b128 v[74:77], v142 offset:9152
	ds_load_b128 v[78:81], v142 offset:1664
	ds_load_b128 v[82:85], v142 offset:2496
	s_wait_loadcnt_dscnt 0x405
	v_mul_f64_e32 v[86:87], v[64:65], v[54:55]
	v_mul_f64_e32 v[88:89], v[62:63], v[54:55]
	s_wait_loadcnt_dscnt 0x304
	v_mul_f64_e32 v[90:91], v[66:67], v[58:59]
	v_mul_f64_e32 v[92:93], v[68:69], v[58:59]
	s_wait_dscnt 0x3
	v_mul_f64_e32 v[94:95], v[72:73], v[54:55]
	v_mul_f64_e32 v[96:97], v[70:71], v[54:55]
	s_wait_dscnt 0x2
	v_mul_f64_e32 v[98:99], v[74:75], v[58:59]
	v_mul_f64_e32 v[100:101], v[76:77], v[58:59]
	s_wait_loadcnt_dscnt 0x201
	v_mul_f64_e32 v[102:103], v[80:81], v[6:7]
	v_mul_f64_e32 v[104:105], v[78:79], v[6:7]
	s_wait_dscnt 0x0
	v_mul_f64_e32 v[106:107], v[84:85], v[6:7]
	v_mul_f64_e32 v[108:109], v[82:83], v[6:7]
	v_fma_f64 v[86:87], v[62:63], v[52:53], -v[86:87]
	v_fma_f64 v[88:89], v[64:65], v[52:53], v[88:89]
	v_fma_f64 v[90:91], v[68:69], v[56:57], v[90:91]
	v_fma_f64 v[92:93], v[66:67], v[56:57], -v[92:93]
	v_fma_f64 v[94:95], v[70:71], v[52:53], -v[94:95]
	v_fma_f64 v[96:97], v[72:73], v[52:53], v[96:97]
	v_fma_f64 v[98:99], v[76:77], v[56:57], v[98:99]
	v_fma_f64 v[100:101], v[74:75], v[56:57], -v[100:101]
	ds_load_b128 v[62:65], v142 offset:3328
	ds_load_b128 v[66:69], v142 offset:6656
	;; [unrolled: 1-line block ×4, first 2 shown]
	v_fma_f64 v[78:79], v[78:79], v[4:5], -v[102:103]
	v_fma_f64 v[80:81], v[80:81], v[4:5], v[104:105]
	v_fma_f64 v[82:83], v[82:83], v[4:5], -v[106:107]
	v_fma_f64 v[84:85], v[84:85], v[4:5], v[108:109]
	s_wait_loadcnt_dscnt 0x103
	v_mul_f64_e32 v[110:111], v[64:65], v[14:15]
	v_mul_f64_e32 v[112:113], v[62:63], v[14:15]
	s_wait_loadcnt_dscnt 0x2
	v_mul_f64_e32 v[114:115], v[68:69], v[10:11]
	v_mul_f64_e32 v[116:117], v[66:67], v[10:11]
	s_wait_dscnt 0x1
	v_mul_f64_e32 v[118:119], v[72:73], v[14:15]
	v_mul_f64_e32 v[120:121], v[70:71], v[14:15]
	s_wait_dscnt 0x0
	v_mul_f64_e32 v[122:123], v[76:77], v[10:11]
	v_mul_f64_e32 v[124:125], v[74:75], v[10:11]
	v_add_f64_e32 v[102:103], v[88:89], v[90:91]
	v_add_f64_e32 v[104:105], v[86:87], v[92:93]
	;; [unrolled: 1-line block ×4, first 2 shown]
	v_fma_f64 v[110:111], v[62:63], v[12:13], -v[110:111]
	v_fma_f64 v[112:113], v[64:65], v[12:13], v[112:113]
	v_fma_f64 v[114:115], v[66:67], v[8:9], -v[114:115]
	v_fma_f64 v[116:117], v[68:69], v[8:9], v[116:117]
	v_add_f64_e64 v[62:63], v[88:89], -v[90:91]
	v_add_f64_e64 v[64:65], v[86:87], -v[92:93]
	v_fma_f64 v[70:71], v[70:71], v[12:13], -v[118:119]
	v_fma_f64 v[72:73], v[72:73], v[12:13], v[120:121]
	v_fma_f64 v[74:75], v[74:75], v[8:9], -v[122:123]
	v_fma_f64 v[76:77], v[76:77], v[8:9], v[124:125]
	v_fma_f64 v[66:67], v[102:103], -0.5, v[80:81]
	v_fma_f64 v[68:69], v[104:105], -0.5, v[78:79]
	v_add_f64_e64 v[102:103], v[96:97], -v[98:99]
	v_add_f64_e64 v[104:105], v[94:95], -v[100:101]
	v_fma_f64 v[106:107], v[106:107], -0.5, v[84:85]
	v_fma_f64 v[108:109], v[108:109], -0.5, v[82:83]
	v_add_f64_e32 v[78:79], v[78:79], v[86:87]
	v_add_f64_e32 v[80:81], v[80:81], v[88:89]
	;; [unrolled: 1-line block ×6, first 2 shown]
	v_add_f64_e64 v[94:95], v[110:111], -v[114:115]
	v_add_f64_e32 v[130:131], v[70:71], v[74:75]
	v_add_f64_e32 v[133:134], v[72:73], v[76:77]
	s_wait_alu 0xfffe
	v_fma_f64 v[122:123], v[64:65], s[2:3], v[66:67]
	v_fma_f64 v[126:127], v[62:63], s[0:1], v[68:69]
	;; [unrolled: 1-line block ×8, first 2 shown]
	ds_load_b128 v[62:65], v142
	ds_load_b128 v[66:69], v142 offset:832
	v_add_f64_e64 v[108:109], v[112:113], -v[116:117]
	v_add_f64_e32 v[78:79], v[78:79], v[92:93]
	v_add_f64_e32 v[80:81], v[80:81], v[90:91]
	;; [unrolled: 1-line block ×4, first 2 shown]
	global_wb scope:SCOPE_SE
	s_wait_dscnt 0x0
	s_barrier_signal -1
	s_barrier_wait -1
	global_inv scope:SCOPE_SE
	v_add_f64_e32 v[106:107], v[62:63], v[110:111]
	v_add_f64_e32 v[112:113], v[64:65], v[112:113]
	;; [unrolled: 1-line block ×3, first 2 shown]
	v_fma_f64 v[62:63], v[118:119], -0.5, v[62:63]
	v_fma_f64 v[64:65], v[120:121], -0.5, v[64:65]
	v_add_f64_e32 v[88:89], v[68:69], v[72:73]
	v_add_f64_e64 v[72:73], v[72:73], -v[76:77]
	v_fma_f64 v[66:67], v[130:131], -0.5, v[66:67]
	v_add_f64_e64 v[70:71], v[70:71], -v[74:75]
	v_fma_f64 v[68:69], v[133:134], -0.5, v[68:69]
	v_mul_f64_e32 v[96:97], s[0:1], v[122:123]
	v_mul_f64_e32 v[118:119], s[2:3], v[126:127]
	v_mul_f64_e32 v[110:111], -0.5, v[124:125]
	v_mul_f64_e32 v[120:121], -0.5, v[128:129]
	v_mul_f64_e32 v[130:131], s[0:1], v[135:136]
	v_mul_f64_e32 v[133:134], -0.5, v[137:138]
	v_mul_f64_e32 v[148:149], s[2:3], v[102:103]
	v_mul_f64_e32 v[150:151], -0.5, v[104:105]
	v_add_f64_e32 v[106:107], v[106:107], v[114:115]
	v_add_f64_e32 v[112:113], v[112:113], v[116:117]
	;; [unrolled: 1-line block ×3, first 2 shown]
	v_fma_f64 v[86:87], v[108:109], s[0:1], v[62:63]
	v_fma_f64 v[92:93], v[94:95], s[2:3], v[64:65]
	v_add_f64_e32 v[76:77], v[88:89], v[76:77]
	v_fma_f64 v[88:89], v[108:109], s[2:3], v[62:63]
	v_fma_f64 v[94:95], v[94:95], s[0:1], v[64:65]
	;; [unrolled: 1-line block ×4, first 2 shown]
	v_fma_f64 v[90:91], v[126:127], 0.5, v[96:97]
	v_fma_f64 v[98:99], v[122:123], 0.5, v[118:119]
	v_fma_f64 v[96:97], v[128:129], s[0:1], v[110:111]
	v_fma_f64 v[100:101], v[124:125], s[2:3], v[120:121]
	v_fma_f64 v[102:103], v[102:103], 0.5, v[130:131]
	v_fma_f64 v[110:111], v[72:73], s[2:3], v[66:67]
	v_fma_f64 v[118:119], v[135:136], 0.5, v[148:149]
	v_fma_f64 v[116:117], v[70:71], s[0:1], v[68:69]
	v_fma_f64 v[104:105], v[104:105], s[0:1], v[133:134]
	v_fma_f64 v[120:121], v[137:138], s[2:3], v[150:151]
	v_add_f64_e32 v[62:63], v[106:107], v[78:79]
	v_add_f64_e32 v[64:65], v[112:113], v[80:81]
	v_add_f64_e64 v[66:67], v[106:107], -v[78:79]
	v_add_f64_e64 v[68:69], v[112:113], -v[80:81]
	v_add_f64_e32 v[70:71], v[74:75], v[82:83]
	v_add_f64_e32 v[72:73], v[76:77], v[84:85]
	v_add_f64_e64 v[74:75], v[74:75], -v[82:83]
	v_add_f64_e64 v[76:77], v[76:77], -v[84:85]
	v_add_f64_e32 v[78:79], v[86:87], v[90:91]
	v_add_f64_e32 v[80:81], v[92:93], v[98:99]
	;; [unrolled: 1-line block ×4, first 2 shown]
	v_add_f64_e64 v[86:87], v[86:87], -v[90:91]
	v_add_f64_e64 v[90:91], v[88:89], -v[96:97]
	;; [unrolled: 1-line block ×4, first 2 shown]
	v_add_f64_e32 v[94:95], v[108:109], v[102:103]
	v_add_f64_e32 v[96:97], v[114:115], v[118:119]
	v_add_f64_e32 v[98:99], v[110:111], v[104:105]
	v_add_f64_e32 v[100:101], v[116:117], v[120:121]
	v_add_f64_e64 v[102:103], v[108:109], -v[102:103]
	v_add_f64_e64 v[106:107], v[110:111], -v[104:105]
	;; [unrolled: 1-line block ×4, first 2 shown]
	v_lshlrev_b32_e32 v110, 6, v244
	ds_store_b128 v142, v[62:65]
	ds_store_b128 v142, v[78:81] offset:832
	ds_store_b128 v142, v[82:85] offset:1664
	;; [unrolled: 1-line block ×11, first 2 shown]
	v_sub_co_u32 v110, s0, v60, v110
	s_wait_alu 0xf1ff
	v_subrev_co_ci_u32_e64 v111, s0, 0, v61, s0
	global_wb scope:SCOPE_SE
	s_wait_dscnt 0x0
	s_barrier_signal -1
	s_barrier_wait -1
	global_inv scope:SCOPE_SE
	s_clause 0x5
	global_load_b128 v[60:63], v[110:111], off offset:4784
	global_load_b128 v[64:67], v[110:111], off offset:5616
	;; [unrolled: 1-line block ×6, first 2 shown]
	ds_load_b128 v[84:87], v142 offset:4992
	ds_load_b128 v[88:91], v142 offset:5824
	;; [unrolled: 1-line block ×6, first 2 shown]
	s_wait_loadcnt_dscnt 0x505
	v_mul_f64_e32 v[108:109], v[86:87], v[62:63]
	v_mul_f64_e32 v[110:111], v[84:85], v[62:63]
	s_wait_loadcnt_dscnt 0x404
	v_mul_f64_e32 v[112:113], v[90:91], v[66:67]
	v_mul_f64_e32 v[114:115], v[88:89], v[66:67]
	;; [unrolled: 3-line block ×6, first 2 shown]
	v_fma_f64 v[108:109], v[84:85], v[60:61], -v[108:109]
	v_fma_f64 v[110:111], v[86:87], v[60:61], v[110:111]
	v_fma_f64 v[112:113], v[88:89], v[64:65], -v[112:113]
	v_fma_f64 v[114:115], v[90:91], v[64:65], v[114:115]
	;; [unrolled: 2-line block ×6, first 2 shown]
	ds_load_b128 v[84:87], v142
	ds_load_b128 v[96:99], v142 offset:832
	ds_load_b128 v[104:107], v142 offset:1664
	;; [unrolled: 1-line block ×5, first 2 shown]
	s_wait_dscnt 0x5
	v_add_f64_e64 v[88:89], v[84:85], -v[108:109]
	v_add_f64_e64 v[90:91], v[86:87], -v[110:111]
	s_wait_dscnt 0x4
	v_add_f64_e64 v[92:93], v[96:97], -v[112:113]
	v_add_f64_e64 v[94:95], v[98:99], -v[114:115]
	;; [unrolled: 3-line block ×6, first 2 shown]
	v_fma_f64 v[84:85], v[84:85], 2.0, -v[88:89]
	v_fma_f64 v[86:87], v[86:87], 2.0, -v[90:91]
	v_fma_f64 v[96:97], v[96:97], 2.0, -v[92:93]
	v_fma_f64 v[98:99], v[98:99], 2.0, -v[94:95]
	v_fma_f64 v[112:113], v[104:105], 2.0, -v[116:117]
	v_fma_f64 v[114:115], v[106:107], 2.0, -v[118:119]
	v_fma_f64 v[128:129], v[124:125], 2.0, -v[120:121]
	v_fma_f64 v[130:131], v[126:127], 2.0, -v[122:123]
	v_fma_f64 v[124:125], v[133:134], 2.0, -v[108:109]
	v_fma_f64 v[126:127], v[135:136], 2.0, -v[110:111]
	v_fma_f64 v[104:105], v[148:149], 2.0, -v[100:101]
	v_fma_f64 v[106:107], v[150:151], 2.0, -v[102:103]
	ds_store_b128 v142, v[88:91] offset:4992
	ds_store_b128 v142, v[92:95] offset:5824
	ds_store_b128 v142, v[116:119] offset:6656
	ds_store_b128 v142, v[120:123] offset:7488
	ds_store_b128 v142, v[108:111] offset:8320
	ds_store_b128 v142, v[100:103] offset:9152
	ds_store_b128 v142, v[84:87]
	ds_store_b128 v142, v[96:99] offset:832
	ds_store_b128 v142, v[112:115] offset:1664
	;; [unrolled: 1-line block ×5, first 2 shown]
	global_wb scope:SCOPE_SE
	s_wait_dscnt 0x0
	s_barrier_signal -1
	s_barrier_wait -1
	global_inv scope:SCOPE_SE
	s_and_saveexec_b32 s2, vcc_lo
	s_cbranch_execz .LBB0_9
; %bb.8:
	global_load_b128 v[133:136], v141, s[12:13] offset:9984
	s_add_nc_u64 s[0:1], s[12:13], 0x2700
	s_clause 0x4
	global_load_b128 v[148:151], v141, s[0:1] offset:768
	global_load_b128 v[152:155], v141, s[0:1] offset:1536
	;; [unrolled: 1-line block ×5, first 2 shown]
	ds_load_b128 v[168:171], v142
	s_wait_loadcnt_dscnt 0x500
	v_mul_f64_e32 v[137:138], v[170:171], v[135:136]
	v_mul_f64_e32 v[135:136], v[168:169], v[135:136]
	s_delay_alu instid0(VALU_DEP_2) | instskip(NEXT) | instid1(VALU_DEP_2)
	v_fma_f64 v[168:169], v[168:169], v[133:134], -v[137:138]
	v_fma_f64 v[170:171], v[170:171], v[133:134], v[135:136]
	ds_store_b128 v142, v[168:171]
	ds_load_b128 v[133:136], v144 offset:768
	ds_load_b128 v[168:171], v144 offset:1536
	s_wait_loadcnt_dscnt 0x401
	v_mul_f64_e32 v[137:138], v[135:136], v[150:151]
	v_mul_f64_e32 v[150:151], v[133:134], v[150:151]
	s_wait_loadcnt_dscnt 0x300
	v_mul_f64_e32 v[176:177], v[170:171], v[154:155]
	v_mul_f64_e32 v[154:155], v[168:169], v[154:155]
	s_delay_alu instid0(VALU_DEP_4) | instskip(NEXT) | instid1(VALU_DEP_4)
	v_fma_f64 v[133:134], v[133:134], v[148:149], -v[137:138]
	v_fma_f64 v[135:136], v[135:136], v[148:149], v[150:151]
	ds_load_b128 v[148:151], v144 offset:2304
	ds_load_b128 v[172:175], v144 offset:3072
	v_fma_f64 v[168:169], v[168:169], v[152:153], -v[176:177]
	v_fma_f64 v[170:171], v[170:171], v[152:153], v[154:155]
	s_wait_loadcnt_dscnt 0x201
	v_mul_f64_e32 v[137:138], v[150:151], v[158:159]
	v_mul_f64_e32 v[152:153], v[148:149], v[158:159]
	s_wait_loadcnt_dscnt 0x100
	v_mul_f64_e32 v[176:177], v[174:175], v[162:163]
	v_mul_f64_e32 v[162:163], v[172:173], v[162:163]
	s_delay_alu instid0(VALU_DEP_4) | instskip(NEXT) | instid1(VALU_DEP_4)
	v_fma_f64 v[148:149], v[148:149], v[156:157], -v[137:138]
	v_fma_f64 v[150:151], v[150:151], v[156:157], v[152:153]
	ds_load_b128 v[156:159], v144 offset:3840
	global_load_b128 v[152:155], v141, s[0:1] offset:4608
	v_fma_f64 v[172:173], v[172:173], v[160:161], -v[176:177]
	v_fma_f64 v[174:175], v[174:175], v[160:161], v[162:163]
	ds_load_b128 v[160:163], v144 offset:4608
	s_wait_loadcnt_dscnt 0x101
	v_mul_f64_e32 v[137:138], v[158:159], v[166:167]
	v_mul_f64_e32 v[166:167], v[156:157], v[166:167]
	s_delay_alu instid0(VALU_DEP_2) | instskip(NEXT) | instid1(VALU_DEP_2)
	v_fma_f64 v[156:157], v[156:157], v[164:165], -v[137:138]
	v_fma_f64 v[158:159], v[158:159], v[164:165], v[166:167]
	global_load_b128 v[164:167], v141, s[0:1] offset:5376
	s_wait_loadcnt_dscnt 0x100
	v_mul_f64_e32 v[137:138], v[162:163], v[154:155]
	v_mul_f64_e32 v[154:155], v[160:161], v[154:155]
	s_delay_alu instid0(VALU_DEP_2) | instskip(NEXT) | instid1(VALU_DEP_2)
	v_fma_f64 v[160:161], v[160:161], v[152:153], -v[137:138]
	v_fma_f64 v[162:163], v[162:163], v[152:153], v[154:155]
	ds_load_b128 v[152:155], v144 offset:5376
	ds_load_b128 v[176:179], v144 offset:6144
	s_wait_loadcnt_dscnt 0x1
	v_mul_f64_e32 v[137:138], v[154:155], v[166:167]
	v_mul_f64_e32 v[166:167], v[152:153], v[166:167]
	s_delay_alu instid0(VALU_DEP_2) | instskip(NEXT) | instid1(VALU_DEP_2)
	v_fma_f64 v[152:153], v[152:153], v[164:165], -v[137:138]
	v_fma_f64 v[154:155], v[154:155], v[164:165], v[166:167]
	s_clause 0x1
	global_load_b128 v[164:167], v141, s[0:1] offset:6144
	global_load_b128 v[180:183], v141, s[0:1] offset:6912
	s_wait_loadcnt_dscnt 0x100
	v_mul_f64_e32 v[137:138], v[178:179], v[166:167]
	v_mul_f64_e32 v[166:167], v[176:177], v[166:167]
	s_delay_alu instid0(VALU_DEP_2) | instskip(NEXT) | instid1(VALU_DEP_2)
	v_fma_f64 v[176:177], v[176:177], v[164:165], -v[137:138]
	v_fma_f64 v[178:179], v[178:179], v[164:165], v[166:167]
	ds_load_b128 v[164:167], v144 offset:6912
	ds_load_b128 v[184:187], v144 offset:7680
	s_wait_loadcnt_dscnt 0x1
	v_mul_f64_e32 v[137:138], v[166:167], v[182:183]
	v_mul_f64_e32 v[182:183], v[164:165], v[182:183]
	s_delay_alu instid0(VALU_DEP_2) | instskip(NEXT) | instid1(VALU_DEP_2)
	v_fma_f64 v[164:165], v[164:165], v[180:181], -v[137:138]
	v_fma_f64 v[166:167], v[166:167], v[180:181], v[182:183]
	s_clause 0x1
	global_load_b128 v[180:183], v141, s[0:1] offset:7680
	global_load_b128 v[188:191], v141, s[0:1] offset:8448
	s_wait_loadcnt_dscnt 0x100
	v_mul_f64_e32 v[137:138], v[186:187], v[182:183]
	v_mul_f64_e32 v[192:193], v[184:185], v[182:183]
	s_delay_alu instid0(VALU_DEP_2) | instskip(NEXT) | instid1(VALU_DEP_2)
	v_fma_f64 v[182:183], v[184:185], v[180:181], -v[137:138]
	v_fma_f64 v[184:185], v[186:187], v[180:181], v[192:193]
	ds_load_b128 v[192:195], v144 offset:8448
	ds_load_b128 v[196:199], v144 offset:9216
	s_wait_loadcnt_dscnt 0x1
	v_mul_f64_e32 v[137:138], v[194:195], v[190:191]
	v_mul_f64_e32 v[180:181], v[192:193], v[190:191]
	s_delay_alu instid0(VALU_DEP_2)
	v_fma_f64 v[186:187], v[192:193], v[188:189], -v[137:138]
	global_load_b128 v[190:193], v141, s[0:1] offset:9216
	v_fma_f64 v[188:189], v[194:195], v[188:189], v[180:181]
	s_wait_loadcnt_dscnt 0x0
	v_mul_f64_e32 v[137:138], v[198:199], v[192:193]
	v_mul_f64_e32 v[180:181], v[196:197], v[192:193]
	s_delay_alu instid0(VALU_DEP_2) | instskip(NEXT) | instid1(VALU_DEP_2)
	v_fma_f64 v[192:193], v[196:197], v[190:191], -v[137:138]
	v_fma_f64 v[194:195], v[198:199], v[190:191], v[180:181]
	ds_store_b128 v144, v[133:136] offset:768
	ds_store_b128 v144, v[168:171] offset:1536
	;; [unrolled: 1-line block ×12, first 2 shown]
.LBB0_9:
	s_wait_alu 0xfffe
	s_or_b32 exec_lo, exec_lo, s2
	global_wb scope:SCOPE_SE
	s_wait_dscnt 0x0
	s_barrier_signal -1
	s_barrier_wait -1
	global_inv scope:SCOPE_SE
	s_and_saveexec_b32 s0, vcc_lo
	s_cbranch_execz .LBB0_11
; %bb.10:
	ds_load_b128 v[84:87], v142
	ds_load_b128 v[88:91], v142 offset:768
	ds_load_b128 v[96:99], v142 offset:1536
	;; [unrolled: 1-line block ×12, first 2 shown]
.LBB0_11:
	s_wait_alu 0xfffe
	s_or_b32 exec_lo, exec_lo, s0
	global_wb scope:SCOPE_SE
	s_wait_dscnt 0x0
	s_barrier_signal -1
	s_barrier_wait -1
	global_inv scope:SCOPE_SE
	s_and_saveexec_b32 s33, vcc_lo
	s_cbranch_execz .LBB0_13
; %bb.12:
	v_add_f64_e32 v[133:134], v[86:87], v[90:91]
	v_add_f64_e32 v[135:136], v[84:85], v[88:89]
	v_add_f64_e64 v[160:161], v[112:113], -v[108:109]
	v_add_f64_e64 v[162:163], v[94:95], -v[106:107]
	v_add_f64_e32 v[164:165], v[92:93], v[104:105]
	v_add_f64_e64 v[166:167], v[96:97], -v[100:101]
	v_add_f64_e64 v[168:169], v[98:99], -v[102:103]
	v_add_f64_e32 v[172:173], v[100:101], v[96:97]
	s_mov_b32 s37, 0x3fddbe06
	s_mov_b32 s36, 0x4267c47c
	;; [unrolled: 1-line block ×7, first 2 shown]
	v_add_f64_e32 v[170:171], v[102:103], v[98:99]
	s_mov_b32 s31, 0x3fefc445
	s_mov_b32 s11, 0xbfedeba7
	;; [unrolled: 1-line block ×7, first 2 shown]
	s_wait_alu 0xfffe
	s_mov_b32 s26, s34
	s_mov_b32 s24, s30
	;; [unrolled: 1-line block ×15, first 2 shown]
	v_add_f64_e32 v[133:134], v[98:99], v[133:134]
	v_add_f64_e32 v[135:136], v[96:97], v[135:136]
	v_add_f64_e64 v[96:97], v[88:89], -v[0:1]
	v_add_f64_e64 v[98:99], v[90:91], -v[2:3]
	v_add_f64_e32 v[90:91], v[2:3], v[90:91]
	v_add_f64_e32 v[88:89], v[0:1], v[88:89]
	v_mul_f64_e32 v[150:151], s[36:37], v[162:163]
	v_mul_f64_e32 v[152:153], s[36:37], v[160:161]
	s_mov_b32 s38, s2
	v_add_f64_e32 v[133:134], v[94:95], v[133:134]
	v_add_f64_e32 v[135:136], v[92:93], v[135:136]
	s_wait_alu 0xfffe
	v_mul_f64_e32 v[174:175], s[26:27], v[96:97]
	v_mul_f64_e32 v[188:189], s[2:3], v[98:99]
	;; [unrolled: 1-line block ×5, first 2 shown]
	v_add_f64_e32 v[133:134], v[114:115], v[133:134]
	v_add_f64_e32 v[135:136], v[112:113], v[135:136]
	;; [unrolled: 1-line block ×3, first 2 shown]
	v_fma_f64 v[184:185], v[90:91], s[22:23], v[174:175]
	v_fma_f64 v[174:175], v[90:91], s[22:23], -v[174:175]
	v_fma_f64 v[198:199], v[88:89], s[16:17], -v[188:189]
	v_fma_f64 v[188:189], v[88:89], s[16:17], v[188:189]
	v_fma_f64 v[200:201], v[88:89], s[18:19], -v[190:191]
	v_fma_f64 v[190:191], v[88:89], s[18:19], v[190:191]
	;; [unrolled: 2-line block ×4, first 2 shown]
	v_add_f64_e32 v[133:134], v[118:119], v[133:134]
	v_add_f64_e32 v[135:136], v[116:117], v[135:136]
	;; [unrolled: 1-line block ×10, first 2 shown]
	v_add_f64_e64 v[135:136], v[128:129], -v[120:121]
	v_add_f64_e32 v[128:129], v[120:121], v[128:129]
	v_add_f64_e32 v[133:134], v[122:123], v[130:131]
	v_add_f64_e64 v[130:131], v[130:131], -v[122:123]
	v_add_f64_e32 v[137:138], v[122:123], v[137:138]
	v_add_f64_e32 v[148:149], v[120:121], v[148:149]
	;; [unrolled: 1-line block ×3, first 2 shown]
	v_add_f64_e64 v[118:119], v[118:119], -v[126:127]
	v_add_f64_e64 v[122:123], v[116:117], -v[124:125]
	v_add_f64_e32 v[116:117], v[124:125], v[116:117]
	v_mul_f64_e32 v[156:157], s[36:37], v[135:136]
	v_mul_f64_e32 v[158:159], s[36:37], v[130:131]
	;; [unrolled: 1-line block ×6, first 2 shown]
	v_add_f64_e32 v[126:127], v[126:127], v[137:138]
	v_add_f64_e32 v[137:138], v[124:125], v[148:149]
	;; [unrolled: 1-line block ×3, first 2 shown]
	v_add_f64_e64 v[114:115], v[114:115], -v[110:111]
	s_delay_alu instid0(VALU_DEP_4) | instskip(NEXT) | instid1(VALU_DEP_4)
	v_add_f64_e32 v[110:111], v[110:111], v[126:127]
	v_add_f64_e32 v[108:109], v[108:109], v[137:138]
	v_add_f64_e64 v[126:127], v[92:93], -v[104:105]
	v_add_f64_e32 v[137:138], v[94:95], v[106:107]
	v_mul_f64_e32 v[154:155], s[36:37], v[114:115]
	v_add_f64_e32 v[92:93], v[106:107], v[110:111]
	v_add_f64_e32 v[94:95], v[104:105], v[108:109]
	v_mul_f64_e32 v[148:149], s[36:37], v[126:127]
	v_mul_f64_e32 v[104:105], s[0:1], v[96:97]
	;; [unrolled: 1-line block ×5, first 2 shown]
	v_add_f64_e32 v[92:93], v[102:103], v[92:93]
	v_add_f64_e32 v[94:95], v[100:101], v[94:95]
	v_mul_f64_e32 v[100:101], s[36:37], v[122:123]
	v_mul_f64_e32 v[102:103], s[36:37], v[118:119]
	v_fma_f64 v[176:177], v[90:91], s[14:15], v[104:105]
	v_fma_f64 v[104:105], v[90:91], s[14:15], -v[104:105]
	v_fma_f64 v[178:179], v[90:91], s[16:17], v[106:107]
	v_fma_f64 v[106:107], v[90:91], s[16:17], -v[106:107]
	;; [unrolled: 2-line block ×4, first 2 shown]
	v_add_f64_e32 v[2:3], v[2:3], v[92:93]
	v_add_f64_e32 v[0:1], v[0:1], v[94:95]
	v_mul_f64_e32 v[92:93], s[36:37], v[166:167]
	v_mul_f64_e32 v[94:95], s[36:37], v[168:169]
	s_mov_b32 s37, 0xbfddbe06
	v_add_f64_e32 v[104:105], v[86:87], v[104:105]
	s_wait_alu 0xfffe
	v_mul_f64_e32 v[96:97], s[36:37], v[96:97]
	v_add_f64_e32 v[178:179], v[86:87], v[178:179]
	v_add_f64_e32 v[106:107], v[86:87], v[106:107]
	;; [unrolled: 1-line block ×4, first 2 shown]
	v_fma_f64 v[186:187], v[90:91], s[28:29], v[96:97]
	v_fma_f64 v[90:91], v[90:91], s[28:29], -v[96:97]
	v_mul_f64_e32 v[96:97], s[0:1], v[98:99]
	v_mul_f64_e32 v[98:99], s[36:37], v[98:99]
	s_mov_b32 s37, 0x3fcea1e5
	s_mov_b32 s36, s0
	s_delay_alu instid0(VALU_DEP_4) | instskip(NEXT) | instid1(VALU_DEP_3)
	v_add_f64_e32 v[186:187], v[86:87], v[186:187]
	v_fma_f64 v[196:197], v[88:89], s[14:15], -v[96:97]
	v_fma_f64 v[96:97], v[88:89], s[14:15], v[96:97]
	s_delay_alu instid0(VALU_DEP_4)
	v_fma_f64 v[206:207], v[88:89], s[28:29], -v[98:99]
	v_fma_f64 v[88:89], v[88:89], s[28:29], v[98:99]
	v_add_f64_e32 v[98:99], v[86:87], v[176:177]
	v_add_f64_e32 v[176:177], v[84:85], v[196:197]
	;; [unrolled: 1-line block ×11, first 2 shown]
	v_fma_f64 v[84:85], v[170:171], s[28:29], v[92:93]
	v_mul_f64_e32 v[88:89], s[2:3], v[126:127]
	v_add_f64_e32 v[206:207], v[86:87], v[90:91]
	v_fma_f64 v[86:87], v[172:173], s[28:29], -v[94:95]
	v_fma_f64 v[92:93], v[170:171], s[28:29], -v[92:93]
	v_fma_f64 v[94:95], v[172:173], s[28:29], v[94:95]
	v_add_f64_e32 v[84:85], v[84:85], v[98:99]
	v_fma_f64 v[90:91], v[137:138], s[16:17], v[88:89]
	v_fma_f64 v[88:89], v[137:138], s[16:17], -v[88:89]
	v_add_f64_e32 v[86:87], v[86:87], v[176:177]
	v_add_f64_e32 v[92:93], v[92:93], v[104:105]
	;; [unrolled: 1-line block ×3, first 2 shown]
	v_mul_f64_e32 v[96:97], s[30:31], v[166:167]
	v_mul_f64_e32 v[104:105], s[26:27], v[126:127]
	v_add_f64_e32 v[84:85], v[90:91], v[84:85]
	v_mul_f64_e32 v[90:91], s[2:3], v[162:163]
	v_add_f64_e32 v[88:89], v[88:89], v[92:93]
	s_delay_alu instid0(VALU_DEP_2) | instskip(SKIP_1) | instid1(VALU_DEP_2)
	v_fma_f64 v[98:99], v[164:165], s[16:17], -v[90:91]
	v_fma_f64 v[90:91], v[164:165], s[16:17], v[90:91]
	v_add_f64_e32 v[86:87], v[98:99], v[86:87]
	v_mul_f64_e32 v[98:99], s[34:35], v[160:161]
	s_delay_alu instid0(VALU_DEP_3) | instskip(SKIP_1) | instid1(VALU_DEP_3)
	v_add_f64_e32 v[90:91], v[90:91], v[94:95]
	v_fma_f64 v[94:95], v[128:129], s[20:21], v[218:219]
	v_fma_f64 v[176:177], v[124:125], s[22:23], v[98:99]
	v_fma_f64 v[92:93], v[124:125], s[22:23], -v[98:99]
	v_mul_f64_e32 v[98:99], s[30:31], v[168:169]
	s_delay_alu instid0(VALU_DEP_3) | instskip(SKIP_1) | instid1(VALU_DEP_4)
	v_add_f64_e32 v[84:85], v[176:177], v[84:85]
	v_mul_f64_e32 v[176:177], s[34:35], v[114:115]
	v_add_f64_e32 v[88:89], v[92:93], v[88:89]
	s_delay_alu instid0(VALU_DEP_2) | instskip(SKIP_3) | instid1(VALU_DEP_4)
	v_fma_f64 v[210:211], v[112:113], s[22:23], -v[176:177]
	v_fma_f64 v[92:93], v[112:113], s[22:23], v[176:177]
	v_fma_f64 v[176:177], v[137:138], s[22:23], v[104:105]
	v_fma_f64 v[104:105], v[137:138], s[22:23], -v[104:105]
	v_add_f64_e32 v[86:87], v[210:211], v[86:87]
	v_mul_f64_e32 v[210:211], s[10:11], v[122:123]
	v_add_f64_e32 v[90:91], v[92:93], v[90:91]
	s_delay_alu instid0(VALU_DEP_2) | instskip(SKIP_1) | instid1(VALU_DEP_2)
	v_fma_f64 v[212:213], v[120:121], s[18:19], v[210:211]
	v_fma_f64 v[92:93], v[120:121], s[18:19], -v[210:211]
	v_add_f64_e32 v[84:85], v[212:213], v[84:85]
	v_mul_f64_e32 v[212:213], s[10:11], v[118:119]
	s_delay_alu instid0(VALU_DEP_3) | instskip(NEXT) | instid1(VALU_DEP_2)
	v_add_f64_e32 v[88:89], v[92:93], v[88:89]
	v_fma_f64 v[92:93], v[116:117], s[18:19], v[212:213]
	v_fma_f64 v[214:215], v[116:117], s[18:19], -v[212:213]
	v_mul_f64_e32 v[212:213], s[10:11], v[135:136]
	s_delay_alu instid0(VALU_DEP_3) | instskip(SKIP_1) | instid1(VALU_DEP_4)
	v_add_f64_e32 v[92:93], v[92:93], v[90:91]
	v_fma_f64 v[90:91], v[133:134], s[20:21], -v[216:217]
	v_add_f64_e32 v[214:215], v[214:215], v[86:87]
	v_fma_f64 v[86:87], v[133:134], s[20:21], v[216:217]
	s_delay_alu instid0(VALU_DEP_3)
	v_add_f64_e32 v[90:91], v[90:91], v[88:89]
	v_add_f64_e32 v[88:89], v[94:95], v[92:93]
	v_fma_f64 v[92:93], v[170:171], s[20:21], v[96:97]
	v_fma_f64 v[94:95], v[172:173], s[20:21], -v[98:99]
	v_fma_f64 v[96:97], v[170:171], s[20:21], -v[96:97]
	v_fma_f64 v[98:99], v[172:173], s[20:21], v[98:99]
	v_add_f64_e32 v[86:87], v[86:87], v[84:85]
	v_fma_f64 v[84:85], v[128:129], s[20:21], -v[218:219]
	v_add_f64_e32 v[92:93], v[92:93], v[178:179]
	v_add_f64_e32 v[94:95], v[94:95], v[196:197]
	;; [unrolled: 1-line block ×4, first 2 shown]
	v_mul_f64_e32 v[188:189], s[24:25], v[114:115]
	v_add_f64_e32 v[84:85], v[84:85], v[214:215]
	v_mul_f64_e32 v[214:215], s[10:11], v[130:131]
	v_add_f64_e32 v[92:93], v[176:177], v[92:93]
	;; [unrolled: 2-line block ×3, first 2 shown]
	s_delay_alu instid0(VALU_DEP_2) | instskip(SKIP_2) | instid1(VALU_DEP_3)
	v_fma_f64 v[178:179], v[164:165], s[22:23], -v[176:177]
	v_fma_f64 v[104:105], v[164:165], s[22:23], v[176:177]
	v_mul_f64_e32 v[176:177], s[38:39], v[166:167]
	v_add_f64_e32 v[94:95], v[178:179], v[94:95]
	s_wait_alu 0xfffe
	v_mul_f64_e32 v[178:179], s[36:37], v[160:161]
	s_delay_alu instid0(VALU_DEP_4) | instskip(NEXT) | instid1(VALU_DEP_2)
	v_add_f64_e32 v[98:99], v[104:105], v[98:99]
	v_fma_f64 v[196:197], v[124:125], s[14:15], v[178:179]
	v_fma_f64 v[104:105], v[124:125], s[14:15], -v[178:179]
	v_mul_f64_e32 v[178:179], s[38:39], v[168:169]
	s_delay_alu instid0(VALU_DEP_3) | instskip(SKIP_1) | instid1(VALU_DEP_4)
	v_add_f64_e32 v[92:93], v[196:197], v[92:93]
	v_mul_f64_e32 v[196:197], s[36:37], v[114:115]
	v_add_f64_e32 v[96:97], v[104:105], v[96:97]
	s_delay_alu instid0(VALU_DEP_2) | instskip(SKIP_2) | instid1(VALU_DEP_3)
	v_fma_f64 v[210:211], v[112:113], s[14:15], -v[196:197]
	v_fma_f64 v[104:105], v[112:113], s[14:15], v[196:197]
	v_mul_f64_e32 v[196:197], s[36:37], v[122:123]
	v_add_f64_e32 v[94:95], v[210:211], v[94:95]
	v_fma_f64 v[210:211], v[120:121], s[28:29], v[100:101]
	v_fma_f64 v[100:101], v[120:121], s[28:29], -v[100:101]
	v_add_f64_e32 v[98:99], v[104:105], v[98:99]
	v_fma_f64 v[104:105], v[137:138], s[28:29], v[148:149]
	v_fma_f64 v[148:149], v[137:138], s[28:29], -v[148:149]
	v_add_f64_e32 v[92:93], v[210:211], v[92:93]
	v_add_f64_e32 v[96:97], v[100:101], v[96:97]
	v_fma_f64 v[100:101], v[116:117], s[28:29], v[102:103]
	v_fma_f64 v[210:211], v[116:117], s[28:29], -v[102:103]
	v_fma_f64 v[102:103], v[128:129], s[18:19], v[214:215]
	s_delay_alu instid0(VALU_DEP_3) | instskip(SKIP_1) | instid1(VALU_DEP_4)
	v_add_f64_e32 v[100:101], v[100:101], v[98:99]
	v_fma_f64 v[98:99], v[133:134], s[18:19], -v[212:213]
	v_add_f64_e32 v[210:211], v[210:211], v[94:95]
	v_fma_f64 v[94:95], v[133:134], s[18:19], v[212:213]
	v_mul_f64_e32 v[212:213], s[34:35], v[130:131]
	v_mul_f64_e32 v[130:131], s[0:1], v[130:131]
	v_add_f64_e32 v[98:99], v[98:99], v[96:97]
	v_add_f64_e32 v[96:97], v[102:103], v[100:101]
	v_fma_f64 v[100:101], v[170:171], s[16:17], v[176:177]
	v_fma_f64 v[102:103], v[172:173], s[16:17], -v[178:179]
	v_add_f64_e32 v[94:95], v[94:95], v[92:93]
	v_fma_f64 v[92:93], v[128:129], s[18:19], -v[214:215]
	v_mul_f64_e32 v[214:215], s[10:11], v[166:167]
	v_fma_f64 v[176:177], v[170:171], s[16:17], -v[176:177]
	v_fma_f64 v[178:179], v[172:173], s[16:17], v[178:179]
	v_add_f64_e32 v[100:101], v[100:101], v[180:181]
	v_add_f64_e32 v[102:103], v[102:103], v[198:199]
	v_mul_f64_e32 v[180:181], s[24:25], v[160:161]
	v_mul_f64_e32 v[198:199], s[36:37], v[118:119]
	v_add_f64_e32 v[92:93], v[92:93], v[210:211]
	v_mul_f64_e32 v[210:211], s[34:35], v[135:136]
	v_add_f64_e32 v[176:177], v[176:177], v[200:201]
	v_add_f64_e32 v[178:179], v[178:179], v[190:191]
	v_mul_f64_e32 v[135:136], s[0:1], v[135:136]
	v_add_f64_e32 v[100:101], v[104:105], v[100:101]
	v_fma_f64 v[104:105], v[164:165], s[28:29], -v[150:151]
	v_fma_f64 v[150:151], v[164:165], s[28:29], v[150:151]
	v_add_f64_e32 v[148:149], v[148:149], v[176:177]
	v_fma_f64 v[176:177], v[124:125], s[20:21], -v[180:181]
	s_delay_alu instid0(VALU_DEP_4)
	v_add_f64_e32 v[102:103], v[104:105], v[102:103]
	v_fma_f64 v[104:105], v[124:125], s[20:21], v[180:181]
	v_add_f64_e32 v[150:151], v[150:151], v[178:179]
	v_fma_f64 v[178:179], v[128:129], s[22:23], v[212:213]
	;; [unrolled: 2-line block ×3, first 2 shown]
	v_add_f64_e32 v[100:101], v[104:105], v[100:101]
	v_fma_f64 v[104:105], v[112:113], s[20:21], -v[188:189]
	s_delay_alu instid0(VALU_DEP_3) | instskip(SKIP_1) | instid1(VALU_DEP_3)
	v_add_f64_e32 v[150:151], v[176:177], v[150:151]
	v_fma_f64 v[176:177], v[120:121], s[14:15], -v[196:197]
	v_add_f64_e32 v[102:103], v[104:105], v[102:103]
	v_fma_f64 v[104:105], v[120:121], s[14:15], v[196:197]
	s_delay_alu instid0(VALU_DEP_3) | instskip(SKIP_1) | instid1(VALU_DEP_3)
	v_add_f64_e32 v[148:149], v[176:177], v[148:149]
	v_fma_f64 v[176:177], v[116:117], s[14:15], v[198:199]
	v_add_f64_e32 v[100:101], v[104:105], v[100:101]
	v_fma_f64 v[104:105], v[116:117], s[14:15], -v[198:199]
	s_delay_alu instid0(VALU_DEP_3) | instskip(SKIP_1) | instid1(VALU_DEP_3)
	v_add_f64_e32 v[176:177], v[176:177], v[150:151]
	v_fma_f64 v[150:151], v[133:134], s[22:23], -v[210:211]
	v_add_f64_e32 v[104:105], v[104:105], v[102:103]
	v_fma_f64 v[102:103], v[133:134], s[22:23], v[210:211]
	s_delay_alu instid0(VALU_DEP_3) | instskip(SKIP_1) | instid1(VALU_DEP_3)
	v_add_f64_e32 v[150:151], v[150:151], v[148:149]
	v_add_f64_e32 v[148:149], v[178:179], v[176:177]
	;; [unrolled: 1-line block ×3, first 2 shown]
	v_fma_f64 v[100:101], v[128:129], s[22:23], -v[212:213]
	s_delay_alu instid0(VALU_DEP_1) | instskip(SKIP_1) | instid1(VALU_DEP_1)
	v_add_f64_e32 v[100:101], v[100:101], v[104:105]
	v_fma_f64 v[104:105], v[170:171], s[18:19], -v[214:215]
	v_add_f64_e32 v[104:105], v[104:105], v[174:175]
	v_mul_f64_e32 v[174:175], s[10:11], v[168:169]
	s_delay_alu instid0(VALU_DEP_1) | instskip(SKIP_1) | instid1(VALU_DEP_2)
	v_fma_f64 v[106:107], v[172:173], s[18:19], v[174:175]
	v_fma_f64 v[174:175], v[172:173], s[18:19], -v[174:175]
	v_add_f64_e32 v[106:107], v[106:107], v[194:195]
	v_mul_f64_e32 v[194:195], s[0:1], v[126:127]
	s_delay_alu instid0(VALU_DEP_3) | instskip(NEXT) | instid1(VALU_DEP_2)
	v_add_f64_e32 v[174:175], v[174:175], v[192:193]
	v_fma_f64 v[216:217], v[137:138], s[14:15], -v[194:195]
	s_delay_alu instid0(VALU_DEP_1) | instskip(SKIP_1) | instid1(VALU_DEP_1)
	v_add_f64_e32 v[104:105], v[216:217], v[104:105]
	v_mul_f64_e32 v[216:217], s[0:1], v[162:163]
	v_fma_f64 v[218:219], v[164:165], s[14:15], v[216:217]
	s_delay_alu instid0(VALU_DEP_1) | instskip(SKIP_1) | instid1(VALU_DEP_1)
	v_add_f64_e32 v[106:107], v[218:219], v[106:107]
	v_mul_f64_e32 v[218:219], s[38:39], v[160:161]
	v_fma_f64 v[220:221], v[124:125], s[16:17], -v[218:219]
	s_delay_alu instid0(VALU_DEP_1) | instskip(SKIP_2) | instid1(VALU_DEP_2)
	v_add_f64_e32 v[104:105], v[220:221], v[104:105]
	v_mul_f64_e32 v[220:221], s[38:39], v[114:115]
	v_mul_f64_e32 v[114:115], s[10:11], v[114:115]
	v_fma_f64 v[222:223], v[112:113], s[16:17], v[220:221]
	s_delay_alu instid0(VALU_DEP_1) | instskip(SKIP_1) | instid1(VALU_DEP_1)
	v_add_f64_e32 v[106:107], v[222:223], v[106:107]
	v_mul_f64_e32 v[222:223], s[30:31], v[122:123]
	v_fma_f64 v[224:225], v[120:121], s[20:21], -v[222:223]
	s_delay_alu instid0(VALU_DEP_1) | instskip(SKIP_3) | instid1(VALU_DEP_1)
	v_add_f64_e32 v[104:105], v[224:225], v[104:105]
	v_mul_f64_e32 v[224:225], s[30:31], v[118:119]
	s_mov_b32 s31, 0x3fedeba7
	s_mov_b32 s30, s10
	v_fma_f64 v[226:227], v[116:117], s[20:21], v[224:225]
	s_delay_alu instid0(VALU_DEP_1) | instskip(SKIP_2) | instid1(VALU_DEP_2)
	v_add_f64_e32 v[226:227], v[226:227], v[106:107]
	v_fma_f64 v[106:107], v[133:134], s[28:29], -v[156:157]
	v_fma_f64 v[156:157], v[133:134], s[28:29], v[156:157]
	v_add_f64_e32 v[106:107], v[106:107], v[104:105]
	v_fma_f64 v[104:105], v[128:129], s[28:29], v[158:159]
	s_delay_alu instid0(VALU_DEP_1) | instskip(SKIP_2) | instid1(VALU_DEP_2)
	v_add_f64_e32 v[104:105], v[104:105], v[226:227]
	v_mul_f64_e32 v[226:227], s[0:1], v[166:167]
	v_mul_f64_e32 v[166:167], s[26:27], v[166:167]
	v_fma_f64 v[228:229], v[170:171], s[14:15], -v[226:227]
	v_fma_f64 v[176:177], v[170:171], s[14:15], v[226:227]
	s_delay_alu instid0(VALU_DEP_2) | instskip(SKIP_1) | instid1(VALU_DEP_3)
	v_add_f64_e32 v[108:109], v[228:229], v[108:109]
	v_mul_f64_e32 v[228:229], s[0:1], v[168:169]
	v_add_f64_e32 v[176:177], v[176:177], v[182:183]
	v_mul_f64_e32 v[168:169], s[26:27], v[168:169]
	s_delay_alu instid0(VALU_DEP_3) | instskip(SKIP_1) | instid1(VALU_DEP_2)
	v_fma_f64 v[230:231], v[172:173], s[14:15], v[228:229]
	v_fma_f64 v[178:179], v[172:173], s[14:15], -v[228:229]
	v_add_f64_e32 v[110:111], v[230:231], v[110:111]
	s_wait_alu 0xfffe
	v_mul_f64_e32 v[230:231], s[30:31], v[126:127]
	s_delay_alu instid0(VALU_DEP_3) | instskip(SKIP_1) | instid1(VALU_DEP_3)
	v_add_f64_e32 v[178:179], v[178:179], v[202:203]
	v_mul_f64_e32 v[126:127], s[24:25], v[126:127]
	v_fma_f64 v[232:233], v[137:138], s[18:19], -v[230:231]
	v_fma_f64 v[180:181], v[137:138], s[18:19], v[230:231]
	s_delay_alu instid0(VALU_DEP_2) | instskip(SKIP_1) | instid1(VALU_DEP_3)
	v_add_f64_e32 v[108:109], v[232:233], v[108:109]
	v_mul_f64_e32 v[232:233], s[30:31], v[162:163]
	v_add_f64_e32 v[176:177], v[180:181], v[176:177]
	s_delay_alu instid0(VALU_DEP_2) | instskip(SKIP_1) | instid1(VALU_DEP_2)
	v_fma_f64 v[234:235], v[164:165], s[18:19], v[232:233]
	v_fma_f64 v[180:181], v[164:165], s[18:19], -v[232:233]
	v_add_f64_e32 v[110:111], v[234:235], v[110:111]
	v_fma_f64 v[234:235], v[124:125], s[28:29], -v[152:153]
	v_fma_f64 v[152:153], v[124:125], s[28:29], v[152:153]
	s_delay_alu instid0(VALU_DEP_4) | instskip(NEXT) | instid1(VALU_DEP_3)
	v_add_f64_e32 v[178:179], v[180:181], v[178:179]
	v_add_f64_e32 v[108:109], v[234:235], v[108:109]
	v_fma_f64 v[234:235], v[112:113], s[28:29], v[154:155]
	s_delay_alu instid0(VALU_DEP_4) | instskip(SKIP_1) | instid1(VALU_DEP_3)
	v_add_f64_e32 v[152:153], v[152:153], v[176:177]
	v_fma_f64 v[154:155], v[112:113], s[28:29], -v[154:155]
	v_add_f64_e32 v[110:111], v[234:235], v[110:111]
	v_mul_f64_e32 v[234:235], s[26:27], v[122:123]
	s_delay_alu instid0(VALU_DEP_3) | instskip(SKIP_2) | instid1(VALU_DEP_4)
	v_add_f64_e32 v[154:155], v[154:155], v[178:179]
	v_fma_f64 v[178:179], v[128:129], s[16:17], -v[242:243]
	v_mul_f64_e32 v[122:123], s[2:3], v[122:123]
	v_fma_f64 v[236:237], v[120:121], s[22:23], -v[234:235]
	v_fma_f64 v[176:177], v[120:121], s[22:23], v[234:235]
	s_delay_alu instid0(VALU_DEP_2) | instskip(SKIP_1) | instid1(VALU_DEP_3)
	v_add_f64_e32 v[108:109], v[236:237], v[108:109]
	v_mul_f64_e32 v[236:237], s[26:27], v[118:119]
	v_add_f64_e32 v[152:153], v[176:177], v[152:153]
	v_mul_f64_e32 v[118:119], s[2:3], v[118:119]
	s_delay_alu instid0(VALU_DEP_3) | instskip(SKIP_1) | instid1(VALU_DEP_2)
	v_fma_f64 v[176:177], v[116:117], s[22:23], -v[236:237]
	v_fma_f64 v[238:239], v[116:117], s[22:23], v[236:237]
	v_add_f64_e32 v[176:177], v[176:177], v[154:155]
	v_fma_f64 v[154:155], v[133:134], s[16:17], v[240:241]
	s_delay_alu instid0(VALU_DEP_3) | instskip(SKIP_1) | instid1(VALU_DEP_3)
	v_add_f64_e32 v[238:239], v[238:239], v[110:111]
	v_fma_f64 v[110:111], v[133:134], s[16:17], -v[240:241]
	v_add_f64_e32 v[154:155], v[154:155], v[152:153]
	v_add_f64_e32 v[152:153], v[178:179], v[176:177]
	v_fma_f64 v[176:177], v[170:171], s[18:19], v[214:215]
	v_fma_f64 v[178:179], v[137:138], s[14:15], v[194:195]
	v_add_f64_e32 v[110:111], v[110:111], v[108:109]
	v_fma_f64 v[108:109], v[128:129], s[16:17], v[242:243]
	s_delay_alu instid0(VALU_DEP_4) | instskip(NEXT) | instid1(VALU_DEP_2)
	v_add_f64_e32 v[176:177], v[176:177], v[184:185]
	v_add_f64_e32 v[108:109], v[108:109], v[238:239]
	s_delay_alu instid0(VALU_DEP_2) | instskip(SKIP_1) | instid1(VALU_DEP_1)
	v_add_f64_e32 v[176:177], v[178:179], v[176:177]
	v_fma_f64 v[178:179], v[164:165], s[14:15], -v[216:217]
	v_add_f64_e32 v[174:175], v[178:179], v[174:175]
	v_fma_f64 v[178:179], v[124:125], s[16:17], v[218:219]
	s_delay_alu instid0(VALU_DEP_1) | instskip(SKIP_1) | instid1(VALU_DEP_1)
	v_add_f64_e32 v[176:177], v[178:179], v[176:177]
	v_fma_f64 v[178:179], v[112:113], s[16:17], -v[220:221]
	v_add_f64_e32 v[174:175], v[178:179], v[174:175]
	v_fma_f64 v[178:179], v[120:121], s[20:21], v[222:223]
	s_delay_alu instid0(VALU_DEP_1) | instskip(SKIP_1) | instid1(VALU_DEP_1)
	v_add_f64_e32 v[176:177], v[178:179], v[176:177]
	v_fma_f64 v[178:179], v[116:117], s[20:21], -v[224:225]
	v_add_f64_e32 v[174:175], v[178:179], v[174:175]
	v_fma_f64 v[178:179], v[128:129], s[28:29], -v[158:159]
	s_delay_alu instid0(VALU_DEP_4) | instskip(SKIP_2) | instid1(VALU_DEP_4)
	v_add_f64_e32 v[158:159], v[156:157], v[176:177]
	v_fma_f64 v[176:177], v[172:173], s[22:23], v[168:169]
	v_fma_f64 v[168:169], v[172:173], s[22:23], -v[168:169]
	v_add_f64_e32 v[156:157], v[178:179], v[174:175]
	v_fma_f64 v[174:175], v[170:171], s[22:23], -v[166:167]
	v_fma_f64 v[178:179], v[137:138], s[20:21], -v[126:127]
	v_add_f64_e32 v[176:177], v[176:177], v[208:209]
	v_fma_f64 v[166:167], v[170:171], s[22:23], v[166:167]
	v_fma_f64 v[126:127], v[137:138], s[20:21], v[126:127]
	v_add_f64_e32 v[174:175], v[174:175], v[206:207]
	s_delay_alu instid0(VALU_DEP_3) | instskip(SKIP_1) | instid1(VALU_DEP_3)
	v_add_f64_e32 v[137:138], v[166:167], v[186:187]
	v_add_f64_e32 v[166:167], v[168:169], v[204:205]
	;; [unrolled: 1-line block ×3, first 2 shown]
	v_mul_f64_e32 v[178:179], s[24:25], v[162:163]
	s_delay_alu instid0(VALU_DEP_4) | instskip(NEXT) | instid1(VALU_DEP_2)
	v_add_f64_e32 v[126:127], v[126:127], v[137:138]
	v_fma_f64 v[162:163], v[164:165], s[20:21], v[178:179]
	v_fma_f64 v[164:165], v[164:165], s[20:21], -v[178:179]
	s_delay_alu instid0(VALU_DEP_2) | instskip(SKIP_1) | instid1(VALU_DEP_1)
	v_add_f64_e32 v[162:163], v[162:163], v[176:177]
	v_mul_f64_e32 v[176:177], s[10:11], v[160:161]
	v_fma_f64 v[160:161], v[124:125], s[18:19], -v[176:177]
	v_fma_f64 v[124:125], v[124:125], s[18:19], v[176:177]
	s_delay_alu instid0(VALU_DEP_2) | instskip(SKIP_3) | instid1(VALU_DEP_3)
	v_add_f64_e32 v[160:161], v[160:161], v[174:175]
	v_fma_f64 v[174:175], v[112:113], s[18:19], v[114:115]
	v_fma_f64 v[112:113], v[112:113], s[18:19], -v[114:115]
	v_add_f64_e32 v[114:115], v[164:165], v[166:167]
	v_add_f64_e32 v[162:163], v[174:175], v[162:163]
	v_fma_f64 v[174:175], v[120:121], s[16:17], -v[122:123]
	v_fma_f64 v[120:121], v[120:121], s[16:17], v[122:123]
	v_add_f64_e32 v[122:123], v[124:125], v[126:127]
	v_add_f64_e32 v[112:113], v[112:113], v[114:115]
	v_fma_f64 v[114:115], v[133:134], s[14:15], v[135:136]
	v_add_f64_e32 v[160:161], v[174:175], v[160:161]
	v_fma_f64 v[174:175], v[116:117], s[16:17], v[118:119]
	v_fma_f64 v[116:117], v[116:117], s[16:17], -v[118:119]
	v_add_f64_e32 v[118:119], v[120:121], v[122:123]
	v_fma_f64 v[120:121], v[128:129], s[14:15], -v[130:131]
	s_delay_alu instid0(VALU_DEP_4) | instskip(SKIP_4) | instid1(VALU_DEP_1)
	v_add_f64_e32 v[174:175], v[174:175], v[162:163]
	v_fma_f64 v[162:163], v[133:134], s[14:15], -v[135:136]
	v_add_f64_e32 v[112:113], v[116:117], v[112:113]
	v_add_f64_e32 v[114:115], v[114:115], v[118:119]
	v_and_b32_e32 v116, 0xffff, v143
	v_lshlrev_b32_e32 v116, 4, v116
	v_add_f64_e32 v[162:163], v[162:163], v[160:161]
	v_fma_f64 v[160:161], v[128:129], s[14:15], v[130:131]
	v_add_f64_e32 v[112:113], v[120:121], v[112:113]
	s_delay_alu instid0(VALU_DEP_2)
	v_add_f64_e32 v[160:161], v[160:161], v[174:175]
	ds_store_b128 v116, v[104:107] offset:32
	ds_store_b128 v116, v[108:111] offset:48
	;; [unrolled: 1-line block ×11, first 2 shown]
	ds_store_b128 v116, v[0:3]
	ds_store_b128 v116, v[112:115] offset:192
.LBB0_13:
	s_or_b32 exec_lo, exec_lo, s33
	global_wb scope:SCOPE_SE
	s_wait_dscnt 0x0
	s_barrier_signal -1
	s_barrier_wait -1
	global_inv scope:SCOPE_SE
	ds_load_b128 v[0:3], v142 offset:2496
	ds_load_b128 v[84:87], v142 offset:4992
	;; [unrolled: 1-line block ×10, first 2 shown]
	s_mov_b32 s0, 0xe8584caa
	s_mov_b32 s1, 0xbfebb67a
	s_mov_b32 s3, 0x3febb67a
	s_wait_alu 0xfffe
	s_mov_b32 s2, s0
	s_wait_dscnt 0x9
	v_mul_f64_e32 v[120:121], v[38:39], v[2:3]
	v_mul_f64_e32 v[38:39], v[38:39], v[0:1]
	s_wait_dscnt 0x8
	v_mul_f64_e32 v[122:123], v[34:35], v[86:87]
	v_mul_f64_e32 v[34:35], v[34:35], v[84:85]
	s_wait_dscnt 0x7
	v_mul_f64_e32 v[124:125], v[30:31], v[90:91]
	v_mul_f64_e32 v[30:31], v[30:31], v[88:89]
	s_wait_dscnt 0x6
	v_mul_f64_e32 v[126:127], v[26:27], v[94:95]
	v_mul_f64_e32 v[26:27], v[26:27], v[92:93]
	s_wait_dscnt 0x5
	v_mul_f64_e32 v[128:129], v[22:23], v[98:99]
	v_mul_f64_e32 v[22:23], v[22:23], v[96:97]
	s_wait_dscnt 0x4
	v_mul_f64_e32 v[130:131], v[18:19], v[102:103]
	v_mul_f64_e32 v[18:19], v[18:19], v[100:101]
	s_wait_dscnt 0x3
	v_mul_f64_e32 v[133:134], v[50:51], v[106:107]
	v_mul_f64_e32 v[50:51], v[50:51], v[104:105]
	s_wait_dscnt 0x2
	v_mul_f64_e32 v[135:136], v[46:47], v[110:111]
	v_mul_f64_e32 v[46:47], v[46:47], v[108:109]
	s_wait_dscnt 0x1
	v_mul_f64_e32 v[137:138], v[42:43], v[114:115]
	v_mul_f64_e32 v[42:43], v[42:43], v[112:113]
	v_fma_f64 v[120:121], v[36:37], v[0:1], v[120:121]
	v_fma_f64 v[36:37], v[36:37], v[2:3], -v[38:39]
	v_fma_f64 v[38:39], v[32:33], v[84:85], v[122:123]
	v_fma_f64 v[32:33], v[32:33], v[86:87], -v[34:35]
	;; [unrolled: 2-line block ×9, first 2 shown]
	ds_load_b128 v[0:3], v142
	ds_load_b128 v[16:19], v142 offset:832
	global_wb scope:SCOPE_SE
	s_wait_dscnt 0x0
	s_barrier_signal -1
	s_barrier_wait -1
	global_inv scope:SCOPE_SE
	v_add_f64_e64 v[38:39], v[0:1], -v[38:39]
	v_add_f64_e64 v[42:43], v[2:3], -v[32:33]
	;; [unrolled: 1-line block ×12, first 2 shown]
	v_fma_f64 v[46:47], v[0:1], 2.0, -v[38:39]
	v_fma_f64 v[50:51], v[2:3], 2.0, -v[42:43]
	;; [unrolled: 1-line block ×4, first 2 shown]
	v_add_f64_e32 v[0:1], v[38:39], v[28:29]
	v_add_f64_e64 v[2:3], v[42:43], -v[32:33]
	v_fma_f64 v[94:95], v[16:17], 2.0, -v[88:89]
	v_fma_f64 v[96:97], v[18:19], 2.0, -v[90:91]
	;; [unrolled: 1-line block ×4, first 2 shown]
	v_add_f64_e32 v[16:17], v[88:89], v[20:21]
	v_fma_f64 v[98:99], v[116:117], 2.0, -v[84:85]
	v_fma_f64 v[100:101], v[118:119], 2.0, -v[92:93]
	;; [unrolled: 1-line block ×4, first 2 shown]
	v_add_f64_e32 v[28:29], v[84:85], v[40:41]
	v_add_f64_e64 v[20:21], v[46:47], -v[22:23]
	v_add_f64_e64 v[22:23], v[50:51], -v[26:27]
	;; [unrolled: 1-line block ×6, first 2 shown]
	v_fma_f64 v[40:41], v[88:89], 2.0, -v[16:17]
	v_add_f64_e64 v[32:33], v[98:99], -v[36:37]
	v_add_f64_e64 v[34:35], v[100:101], -v[48:49]
	v_fma_f64 v[36:37], v[38:39], 2.0, -v[0:1]
	v_fma_f64 v[38:39], v[42:43], 2.0, -v[2:3]
	;; [unrolled: 1-line block ×11, first 2 shown]
	ds_store_b128 v147, v[20:23] offset:416
	ds_store_b128 v147, v[0:3] offset:624
	ds_store_b128 v147, v[44:47]
	ds_store_b128 v147, v[36:39] offset:208
	ds_store_b128 v146, v[48:51]
	ds_store_b128 v146, v[40:43] offset:208
	ds_store_b128 v146, v[24:27] offset:416
	;; [unrolled: 1-line block ×3, first 2 shown]
	ds_store_b128 v145, v[88:91]
	ds_store_b128 v145, v[84:87] offset:208
	ds_store_b128 v145, v[32:35] offset:416
	;; [unrolled: 1-line block ×3, first 2 shown]
	global_wb scope:SCOPE_SE
	s_wait_dscnt 0x0
	s_barrier_signal -1
	s_barrier_wait -1
	global_inv scope:SCOPE_SE
	ds_load_b128 v[0:3], v142 offset:4992
	ds_load_b128 v[16:19], v142 offset:8320
	;; [unrolled: 1-line block ×6, first 2 shown]
	s_wait_dscnt 0x5
	v_mul_f64_e32 v[36:37], v[54:55], v[0:1]
	s_wait_dscnt 0x4
	v_mul_f64_e32 v[38:39], v[58:59], v[16:17]
	;; [unrolled: 2-line block ×5, first 2 shown]
	v_mul_f64_e32 v[86:87], v[54:55], v[2:3]
	v_mul_f64_e32 v[88:89], v[58:59], v[18:19]
	;; [unrolled: 1-line block ×5, first 2 shown]
	v_fma_f64 v[90:91], v[52:53], v[2:3], -v[36:37]
	v_fma_f64 v[18:19], v[56:57], v[18:19], -v[38:39]
	s_wait_dscnt 0x0
	v_mul_f64_e32 v[2:3], v[6:7], v[32:33]
	v_fma_f64 v[22:23], v[52:53], v[22:23], -v[40:41]
	v_fma_f64 v[26:27], v[56:57], v[26:27], -v[42:43]
	ds_load_b128 v[36:39], v142 offset:3328
	ds_load_b128 v[40:43], v142 offset:6656
	;; [unrolled: 1-line block ×4, first 2 shown]
	v_fma_f64 v[86:87], v[52:53], v[0:1], v[86:87]
	v_fma_f64 v[16:17], v[56:57], v[16:17], v[88:89]
	v_fma_f64 v[30:31], v[4:5], v[30:31], -v[84:85]
	v_mul_f64_e32 v[6:7], v[6:7], v[34:35]
	v_fma_f64 v[20:21], v[52:53], v[20:21], v[54:55]
	v_fma_f64 v[24:25], v[56:57], v[24:25], v[58:59]
	v_fma_f64 v[28:29], v[4:5], v[28:29], v[92:93]
	s_wait_dscnt 0x3
	v_mul_f64_e32 v[94:95], v[14:15], v[38:39]
	v_mul_f64_e32 v[96:97], v[14:15], v[36:37]
	s_wait_dscnt 0x2
	v_mul_f64_e32 v[98:99], v[10:11], v[42:43]
	v_mul_f64_e32 v[100:101], v[10:11], v[40:41]
	;; [unrolled: 3-line block ×4, first 2 shown]
	v_add_f64_e32 v[0:1], v[90:91], v[18:19]
	v_fma_f64 v[34:35], v[4:5], v[34:35], -v[2:3]
	v_add_f64_e64 v[56:57], v[90:91], -v[18:19]
	v_add_f64_e32 v[2:3], v[22:23], v[26:27]
	v_add_f64_e64 v[92:93], v[22:23], -v[26:27]
	v_add_f64_e32 v[52:53], v[86:87], v[16:17]
	v_add_f64_e64 v[54:55], v[86:87], -v[16:17]
	v_fma_f64 v[36:37], v[12:13], v[36:37], v[94:95]
	v_fma_f64 v[38:39], v[12:13], v[38:39], -v[96:97]
	v_fma_f64 v[40:41], v[8:9], v[40:41], v[98:99]
	v_fma_f64 v[42:43], v[8:9], v[42:43], -v[100:101]
	;; [unrolled: 2-line block ×4, first 2 shown]
	v_fma_f64 v[10:11], v[4:5], v[32:33], v[6:7]
	v_add_f64_e32 v[4:5], v[20:21], v[24:25]
	v_add_f64_e64 v[32:33], v[20:21], -v[24:25]
	v_fma_f64 v[0:1], v[0:1], -0.5, v[30:31]
	v_add_f64_e32 v[30:31], v[30:31], v[90:91]
	v_fma_f64 v[46:47], v[2:3], -0.5, v[34:35]
	v_fma_f64 v[52:53], v[52:53], -0.5, v[28:29]
	v_add_f64_e32 v[28:29], v[28:29], v[86:87]
	v_add_f64_e32 v[48:49], v[36:37], v[40:41]
	;; [unrolled: 1-line block ×3, first 2 shown]
	v_add_f64_e64 v[98:99], v[38:39], -v[42:43]
	v_add_f64_e32 v[84:85], v[44:45], v[14:15]
	v_add_f64_e32 v[88:89], v[12:13], v[8:9]
	v_add_f64_e64 v[90:91], v[12:13], -v[8:9]
	v_fma_f64 v[94:95], v[4:5], -0.5, v[10:11]
	ds_load_b128 v[4:7], v142 offset:832
	v_add_f64_e32 v[10:11], v[10:11], v[20:21]
	v_add_f64_e32 v[20:21], v[34:35], v[22:23]
	s_wait_alu 0xfffe
	v_fma_f64 v[58:59], v[54:55], s[2:3], v[0:1]
	v_fma_f64 v[54:55], v[54:55], s[0:1], v[0:1]
	ds_load_b128 v[0:3], v142
	v_fma_f64 v[96:97], v[32:33], s[2:3], v[46:47]
	v_fma_f64 v[32:33], v[32:33], s[0:1], v[46:47]
	v_add_f64_e32 v[18:19], v[30:31], v[18:19]
	v_fma_f64 v[22:23], v[56:57], s[0:1], v[52:53]
	v_fma_f64 v[34:35], v[56:57], s[2:3], v[52:53]
	v_add_f64_e32 v[16:17], v[28:29], v[16:17]
	global_wb scope:SCOPE_SE
	s_wait_dscnt 0x0
	s_barrier_signal -1
	s_barrier_wait -1
	global_inv scope:SCOPE_SE
	v_add_f64_e32 v[12:13], v[6:7], v[12:13]
	v_add_f64_e32 v[86:87], v[4:5], v[44:45]
	v_add_f64_e64 v[44:45], v[44:45], -v[14:15]
	v_add_f64_e32 v[46:47], v[0:1], v[36:37]
	v_add_f64_e32 v[38:39], v[2:3], v[38:39]
	v_add_f64_e64 v[36:37], v[36:37], -v[40:41]
	v_fma_f64 v[0:1], v[48:49], -0.5, v[0:1]
	v_fma_f64 v[2:3], v[50:51], -0.5, v[2:3]
	;; [unrolled: 1-line block ×4, first 2 shown]
	v_fma_f64 v[56:57], v[92:93], s[0:1], v[94:95]
	v_add_f64_e32 v[20:21], v[20:21], v[26:27]
	v_mul_f64_e32 v[48:49], s[0:1], v[58:59]
	v_mul_f64_e32 v[52:53], 0.5, v[58:59]
	v_mul_f64_e32 v[50:51], s[0:1], v[54:55]
	v_mul_f64_e32 v[54:55], -0.5, v[54:55]
	v_fma_f64 v[58:59], v[92:93], s[2:3], v[94:95]
	v_mul_f64_e32 v[84:85], s[0:1], v[96:97]
	v_mul_f64_e32 v[92:93], 0.5, v[96:97]
	v_mul_f64_e32 v[88:89], s[0:1], v[32:33]
	v_mul_f64_e32 v[32:33], -0.5, v[32:33]
	v_add_f64_e32 v[28:29], v[12:13], v[8:9]
	v_add_f64_e32 v[12:13], v[10:11], v[24:25]
	;; [unrolled: 1-line block ×5, first 2 shown]
	v_fma_f64 v[24:25], v[98:99], s[0:1], v[0:1]
	v_fma_f64 v[30:31], v[36:37], s[2:3], v[2:3]
	;; [unrolled: 1-line block ×5, first 2 shown]
	v_fma_f64 v[42:43], v[22:23], 0.5, v[48:49]
	v_fma_f64 v[48:49], v[22:23], s[2:3], v[52:53]
	v_fma_f64 v[46:47], v[34:35], -0.5, v[50:51]
	v_fma_f64 v[34:35], v[34:35], s[2:3], v[54:55]
	v_fma_f64 v[50:51], v[90:91], s[0:1], v[4:5]
	;; [unrolled: 1-line block ×3, first 2 shown]
	v_fma_f64 v[44:45], v[56:57], 0.5, v[84:85]
	v_fma_f64 v[56:57], v[56:57], s[2:3], v[92:93]
	v_fma_f64 v[52:53], v[90:91], s[2:3], v[4:5]
	v_fma_f64 v[84:85], v[58:59], -0.5, v[88:89]
	v_fma_f64 v[58:59], v[58:59], s[2:3], v[32:33]
	v_add_f64_e32 v[10:11], v[28:29], v[20:21]
	v_add_f64_e32 v[8:9], v[14:15], v[12:13]
	v_add_f64_e64 v[12:13], v[14:15], -v[12:13]
	v_add_f64_e64 v[14:15], v[28:29], -v[20:21]
	v_add_f64_e32 v[0:1], v[40:41], v[16:17]
	v_add_f64_e32 v[2:3], v[38:39], v[18:19]
	v_add_f64_e64 v[4:5], v[40:41], -v[16:17]
	v_add_f64_e64 v[6:7], v[38:39], -v[18:19]
	v_add_f64_e32 v[16:17], v[24:25], v[42:43]
	v_add_f64_e32 v[18:19], v[30:31], v[48:49]
	;; [unrolled: 1-line block ×4, first 2 shown]
	v_add_f64_e64 v[24:25], v[24:25], -v[42:43]
	v_add_f64_e64 v[28:29], v[26:27], -v[46:47]
	;; [unrolled: 1-line block ×4, first 2 shown]
	v_add_f64_e32 v[32:33], v[50:51], v[44:45]
	v_add_f64_e32 v[34:35], v[54:55], v[56:57]
	;; [unrolled: 1-line block ×4, first 2 shown]
	v_add_f64_e64 v[40:41], v[50:51], -v[44:45]
	v_add_f64_e64 v[42:43], v[54:55], -v[56:57]
	;; [unrolled: 1-line block ×4, first 2 shown]
	ds_store_b128 v142, v[0:3]
	ds_store_b128 v142, v[16:19] offset:832
	ds_store_b128 v142, v[20:23] offset:1664
	;; [unrolled: 1-line block ×11, first 2 shown]
	global_wb scope:SCOPE_SE
	s_wait_dscnt 0x0
	s_barrier_signal -1
	s_barrier_wait -1
	global_inv scope:SCOPE_SE
	ds_load_b128 v[0:3], v142 offset:4992
	ds_load_b128 v[4:7], v142 offset:5824
	;; [unrolled: 1-line block ×6, first 2 shown]
	s_wait_dscnt 0x5
	v_mul_f64_e32 v[24:25], v[62:63], v[2:3]
	v_mul_f64_e32 v[26:27], v[62:63], v[0:1]
	s_wait_dscnt 0x4
	v_mul_f64_e32 v[28:29], v[66:67], v[6:7]
	v_mul_f64_e32 v[30:31], v[66:67], v[4:5]
	;; [unrolled: 3-line block ×6, first 2 shown]
	v_fma_f64 v[24:25], v[60:61], v[0:1], v[24:25]
	v_fma_f64 v[26:27], v[60:61], v[2:3], -v[26:27]
	v_fma_f64 v[28:29], v[64:65], v[4:5], v[28:29]
	v_fma_f64 v[30:31], v[64:65], v[6:7], -v[30:31]
	v_fma_f64 v[32:33], v[68:69], v[8:9], v[32:33]
	v_fma_f64 v[34:35], v[68:69], v[10:11], -v[34:35]
	v_fma_f64 v[36:37], v[72:73], v[12:13], v[36:37]
	v_fma_f64 v[38:39], v[72:73], v[14:15], -v[38:39]
	v_fma_f64 v[40:41], v[76:77], v[16:17], v[40:41]
	v_fma_f64 v[42:43], v[76:77], v[18:19], -v[42:43]
	v_fma_f64 v[44:45], v[80:81], v[20:21], v[44:45]
	v_fma_f64 v[46:47], v[80:81], v[22:23], -v[46:47]
	ds_load_b128 v[0:3], v142
	ds_load_b128 v[4:7], v142 offset:832
	ds_load_b128 v[8:11], v142 offset:1664
	;; [unrolled: 1-line block ×5, first 2 shown]
	s_wait_dscnt 0x5
	v_add_f64_e64 v[24:25], v[0:1], -v[24:25]
	v_add_f64_e64 v[26:27], v[2:3], -v[26:27]
	s_wait_dscnt 0x4
	v_add_f64_e64 v[28:29], v[4:5], -v[28:29]
	v_add_f64_e64 v[30:31], v[6:7], -v[30:31]
	;; [unrolled: 3-line block ×6, first 2 shown]
	v_fma_f64 v[0:1], v[0:1], 2.0, -v[24:25]
	v_fma_f64 v[2:3], v[2:3], 2.0, -v[26:27]
	v_fma_f64 v[4:5], v[4:5], 2.0, -v[28:29]
	v_fma_f64 v[6:7], v[6:7], 2.0, -v[30:31]
	v_fma_f64 v[8:9], v[8:9], 2.0, -v[32:33]
	v_fma_f64 v[10:11], v[10:11], 2.0, -v[34:35]
	v_fma_f64 v[12:13], v[12:13], 2.0, -v[36:37]
	v_fma_f64 v[14:15], v[14:15], 2.0, -v[38:39]
	v_fma_f64 v[16:17], v[16:17], 2.0, -v[40:41]
	v_fma_f64 v[18:19], v[18:19], 2.0, -v[42:43]
	v_fma_f64 v[20:21], v[20:21], 2.0, -v[44:45]
	v_fma_f64 v[22:23], v[22:23], 2.0, -v[46:47]
	ds_store_b128 v142, v[24:27] offset:4992
	ds_store_b128 v142, v[28:31] offset:5824
	ds_store_b128 v142, v[32:35] offset:6656
	ds_store_b128 v142, v[36:39] offset:7488
	ds_store_b128 v142, v[40:43] offset:8320
	ds_store_b128 v142, v[44:47] offset:9152
	ds_store_b128 v142, v[0:3]
	ds_store_b128 v142, v[4:7] offset:832
	ds_store_b128 v142, v[8:11] offset:1664
	;; [unrolled: 1-line block ×5, first 2 shown]
	global_wb scope:SCOPE_SE
	s_wait_dscnt 0x0
	s_barrier_signal -1
	s_barrier_wait -1
	global_inv scope:SCOPE_SE
	s_and_b32 exec_lo, exec_lo, vcc_lo
	s_cbranch_execz .LBB0_15
; %bb.14:
	s_clause 0xc
	global_load_b128 v[0:3], v141, s[12:13]
	global_load_b128 v[4:7], v141, s[12:13] offset:768
	global_load_b128 v[8:11], v141, s[12:13] offset:1536
	;; [unrolled: 1-line block ×12, first 2 shown]
	v_mad_co_u64_u32 v[104:105], null, s6, v132, 0
	v_mad_co_u64_u32 v[106:107], null, s4, v244, 0
	ds_load_b128 v[52:55], v142
	ds_load_b128 v[56:59], v144 offset:768
	ds_load_b128 v[60:63], v144 offset:1536
	;; [unrolled: 1-line block ×7, first 2 shown]
	v_mov_b32_e32 v84, v105
	v_mad_co_u64_u32 v[108:109], null, s4, v139, 0
	v_mov_b32_e32 v85, v107
	v_mad_co_u64_u32 v[110:111], null, s4, v245, 0
	s_mul_u64 s[0:1], s[4:5], 0x300
	s_mov_b32 s2, 0x1a41a41a
	s_delay_alu instid0(VALU_DEP_2)
	v_mad_co_u64_u32 v[92:93], null, s7, v132, v[84:85]
	v_mad_co_u64_u32 v[112:113], null, s5, v244, v[85:86]
	ds_load_b128 v[84:87], v144 offset:6144
	ds_load_b128 v[88:91], v144 offset:6912
	s_mov_b32 s3, 0x3f5a41a4
	s_mul_i32 s6, s5, 0x600
	v_mov_b32_e32 v107, v112
	v_mad_co_u64_u32 v[112:113], null, s4, v246, 0
	v_mov_b32_e32 v105, v92
	ds_load_b128 v[92:95], v144 offset:7680
	ds_load_b128 v[96:99], v144 offset:8448
	;; [unrolled: 1-line block ×3, first 2 shown]
	v_lshlrev_b64_e32 v[106:107], 4, v[106:107]
	v_lshlrev_b64_e32 v[104:105], 4, v[104:105]
	v_mad_co_u64_u32 v[144:145], null, s5, v245, v[111:112]
	s_delay_alu instid0(VALU_DEP_2) | instskip(SKIP_3) | instid1(VALU_DEP_4)
	v_add_co_u32 v150, vcc_lo, s8, v104
	v_mov_b32_e32 v104, v113
	v_mad_co_u64_u32 v[113:114], null, s5, v139, v[109:110]
	v_add_co_ci_u32_e32 v151, vcc_lo, s9, v105, vcc_lo
	v_add_co_u32 v105, vcc_lo, v150, v106
	v_mov_b32_e32 v111, v144
	s_wait_alu 0xfffd
	s_delay_alu instid0(VALU_DEP_3)
	v_add_co_ci_u32_e32 v106, vcc_lo, v151, v107, vcc_lo
	s_wait_alu 0xfffe
	v_add_co_u32 v114, vcc_lo, v105, s0
	v_mad_co_u64_u32 v[147:148], null, s5, v246, v[104:105]
	s_wait_alu 0xfffd
	v_add_co_ci_u32_e32 v115, vcc_lo, s1, v106, vcc_lo
	s_delay_alu instid0(VALU_DEP_3) | instskip(SKIP_2) | instid1(VALU_DEP_3)
	v_add_co_u32 v142, vcc_lo, v114, s0
	v_mov_b32_e32 v109, v113
	s_wait_alu 0xfffd
	v_add_co_ci_u32_e32 v143, vcc_lo, s1, v115, vcc_lo
	s_delay_alu instid0(VALU_DEP_3) | instskip(SKIP_2) | instid1(VALU_DEP_3)
	v_add_co_u32 v145, vcc_lo, v142, s0
	v_mov_b32_e32 v113, v147
	s_wait_alu 0xfffd
	v_add_co_ci_u32_e32 v146, vcc_lo, s1, v143, vcc_lo
	s_delay_alu instid0(VALU_DEP_1) | instskip(NEXT) | instid1(VALU_DEP_1)
	v_mad_co_u64_u32 v[148:149], null, 0x600, s4, v[145:146]
	v_add_nc_u32_e32 v149, s6, v149
	s_wait_loadcnt_dscnt 0xc0c
	v_mul_f64_e32 v[116:117], v[54:55], v[2:3]
	v_mul_f64_e32 v[2:3], v[52:53], v[2:3]
	s_wait_loadcnt_dscnt 0xb0b
	v_mul_f64_e32 v[118:119], v[58:59], v[6:7]
	v_mul_f64_e32 v[6:7], v[56:57], v[6:7]
	;; [unrolled: 3-line block ×13, first 2 shown]
	v_fma_f64 v[52:53], v[52:53], v[0:1], v[116:117]
	v_fma_f64 v[2:3], v[0:1], v[54:55], -v[2:3]
	v_fma_f64 v[54:55], v[56:57], v[4:5], v[118:119]
	v_fma_f64 v[6:7], v[4:5], v[58:59], -v[6:7]
	;; [unrolled: 2-line block ×13, first 2 shown]
	v_add_co_u32 v78, vcc_lo, v148, s0
	s_wait_alu 0xfffd
	v_add_co_ci_u32_e32 v79, vcc_lo, s1, v149, vcc_lo
	v_lshlrev_b64_e32 v[80:81], 4, v[108:109]
	s_delay_alu instid0(VALU_DEP_3) | instskip(SKIP_1) | instid1(VALU_DEP_3)
	v_add_co_u32 v82, vcc_lo, v78, s0
	s_wait_alu 0xfffd
	v_add_co_ci_u32_e32 v83, vcc_lo, s1, v79, vcc_lo
	v_mul_f64_e32 v[0:1], s[2:3], v[52:53]
	v_mul_f64_e32 v[2:3], s[2:3], v[2:3]
	;; [unrolled: 1-line block ×26, first 2 shown]
	v_mad_co_u64_u32 v[52:53], null, 0x600, s4, v[82:83]
	v_lshlrev_b64_e32 v[54:55], 4, v[110:111]
	v_add_co_u32 v58, vcc_lo, v150, v80
	s_wait_alu 0xfffd
	v_add_co_ci_u32_e32 v59, vcc_lo, v151, v81, vcc_lo
	v_lshlrev_b64_e32 v[56:57], 4, v[112:113]
	v_add_nc_u32_e32 v53, s6, v53
	v_add_co_u32 v54, vcc_lo, v150, v54
	s_wait_alu 0xfffd
	v_add_co_ci_u32_e32 v55, vcc_lo, v151, v55, vcc_lo
	v_add_co_u32 v60, vcc_lo, v52, s0
	s_wait_alu 0xfffd
	v_add_co_ci_u32_e32 v61, vcc_lo, s1, v53, vcc_lo
	;; [unrolled: 3-line block ×4, first 2 shown]
	s_clause 0x5
	global_store_b128 v[105:106], v[0:3], off
	global_store_b128 v[114:115], v[4:7], off
	;; [unrolled: 1-line block ×13, first 2 shown]
.LBB0_15:
	s_nop 0
	s_sendmsg sendmsg(MSG_DEALLOC_VGPRS)
	s_endpgm
	.section	.rodata,"a",@progbits
	.p2align	6, 0x0
	.amdhsa_kernel bluestein_single_back_len624_dim1_dp_op_CI_CI
		.amdhsa_group_segment_fixed_size 9984
		.amdhsa_private_segment_fixed_size 20
		.amdhsa_kernarg_size 104
		.amdhsa_user_sgpr_count 2
		.amdhsa_user_sgpr_dispatch_ptr 0
		.amdhsa_user_sgpr_queue_ptr 0
		.amdhsa_user_sgpr_kernarg_segment_ptr 1
		.amdhsa_user_sgpr_dispatch_id 0
		.amdhsa_user_sgpr_private_segment_size 0
		.amdhsa_wavefront_size32 1
		.amdhsa_uses_dynamic_stack 0
		.amdhsa_enable_private_segment 1
		.amdhsa_system_sgpr_workgroup_id_x 1
		.amdhsa_system_sgpr_workgroup_id_y 0
		.amdhsa_system_sgpr_workgroup_id_z 0
		.amdhsa_system_sgpr_workgroup_info 0
		.amdhsa_system_vgpr_workitem_id 0
		.amdhsa_next_free_vgpr 256
		.amdhsa_next_free_sgpr 46
		.amdhsa_reserve_vcc 1
		.amdhsa_float_round_mode_32 0
		.amdhsa_float_round_mode_16_64 0
		.amdhsa_float_denorm_mode_32 3
		.amdhsa_float_denorm_mode_16_64 3
		.amdhsa_fp16_overflow 0
		.amdhsa_workgroup_processor_mode 1
		.amdhsa_memory_ordered 1
		.amdhsa_forward_progress 0
		.amdhsa_round_robin_scheduling 0
		.amdhsa_exception_fp_ieee_invalid_op 0
		.amdhsa_exception_fp_denorm_src 0
		.amdhsa_exception_fp_ieee_div_zero 0
		.amdhsa_exception_fp_ieee_overflow 0
		.amdhsa_exception_fp_ieee_underflow 0
		.amdhsa_exception_fp_ieee_inexact 0
		.amdhsa_exception_int_div_zero 0
	.end_amdhsa_kernel
	.text
.Lfunc_end0:
	.size	bluestein_single_back_len624_dim1_dp_op_CI_CI, .Lfunc_end0-bluestein_single_back_len624_dim1_dp_op_CI_CI
                                        ; -- End function
	.section	.AMDGPU.csdata,"",@progbits
; Kernel info:
; codeLenInByte = 15640
; NumSgprs: 48
; NumVgprs: 256
; ScratchSize: 20
; MemoryBound: 0
; FloatMode: 240
; IeeeMode: 1
; LDSByteSize: 9984 bytes/workgroup (compile time only)
; SGPRBlocks: 5
; VGPRBlocks: 31
; NumSGPRsForWavesPerEU: 48
; NumVGPRsForWavesPerEU: 256
; Occupancy: 5
; WaveLimiterHint : 1
; COMPUTE_PGM_RSRC2:SCRATCH_EN: 1
; COMPUTE_PGM_RSRC2:USER_SGPR: 2
; COMPUTE_PGM_RSRC2:TRAP_HANDLER: 0
; COMPUTE_PGM_RSRC2:TGID_X_EN: 1
; COMPUTE_PGM_RSRC2:TGID_Y_EN: 0
; COMPUTE_PGM_RSRC2:TGID_Z_EN: 0
; COMPUTE_PGM_RSRC2:TIDIG_COMP_CNT: 0
	.text
	.p2alignl 7, 3214868480
	.fill 96, 4, 3214868480
	.type	__hip_cuid_2c36549a7446ab5e,@object ; @__hip_cuid_2c36549a7446ab5e
	.section	.bss,"aw",@nobits
	.globl	__hip_cuid_2c36549a7446ab5e
__hip_cuid_2c36549a7446ab5e:
	.byte	0                               ; 0x0
	.size	__hip_cuid_2c36549a7446ab5e, 1

	.ident	"AMD clang version 19.0.0git (https://github.com/RadeonOpenCompute/llvm-project roc-6.4.0 25133 c7fe45cf4b819c5991fe208aaa96edf142730f1d)"
	.section	".note.GNU-stack","",@progbits
	.addrsig
	.addrsig_sym __hip_cuid_2c36549a7446ab5e
	.amdgpu_metadata
---
amdhsa.kernels:
  - .args:
      - .actual_access:  read_only
        .address_space:  global
        .offset:         0
        .size:           8
        .value_kind:     global_buffer
      - .actual_access:  read_only
        .address_space:  global
        .offset:         8
        .size:           8
        .value_kind:     global_buffer
      - .actual_access:  read_only
        .address_space:  global
        .offset:         16
        .size:           8
        .value_kind:     global_buffer
      - .actual_access:  read_only
        .address_space:  global
        .offset:         24
        .size:           8
        .value_kind:     global_buffer
      - .actual_access:  read_only
        .address_space:  global
        .offset:         32
        .size:           8
        .value_kind:     global_buffer
      - .offset:         40
        .size:           8
        .value_kind:     by_value
      - .address_space:  global
        .offset:         48
        .size:           8
        .value_kind:     global_buffer
      - .address_space:  global
        .offset:         56
        .size:           8
        .value_kind:     global_buffer
      - .address_space:  global
        .offset:         64
        .size:           8
        .value_kind:     global_buffer
      - .address_space:  global
        .offset:         72
        .size:           8
        .value_kind:     global_buffer
      - .offset:         80
        .size:           4
        .value_kind:     by_value
      - .address_space:  global
        .offset:         88
        .size:           8
        .value_kind:     global_buffer
      - .address_space:  global
        .offset:         96
        .size:           8
        .value_kind:     global_buffer
    .group_segment_fixed_size: 9984
    .kernarg_segment_align: 8
    .kernarg_segment_size: 104
    .language:       OpenCL C
    .language_version:
      - 2
      - 0
    .max_flat_workgroup_size: 52
    .name:           bluestein_single_back_len624_dim1_dp_op_CI_CI
    .private_segment_fixed_size: 20
    .sgpr_count:     48
    .sgpr_spill_count: 0
    .symbol:         bluestein_single_back_len624_dim1_dp_op_CI_CI.kd
    .uniform_work_group_size: 1
    .uses_dynamic_stack: false
    .vgpr_count:     256
    .vgpr_spill_count: 4
    .wavefront_size: 32
    .workgroup_processor_mode: 1
amdhsa.target:   amdgcn-amd-amdhsa--gfx1201
amdhsa.version:
  - 1
  - 2
...

	.end_amdgpu_metadata
